;; amdgpu-corpus repo=ROCm/rocFFT kind=compiled arch=gfx1030 opt=O3
	.text
	.amdgcn_target "amdgcn-amd-amdhsa--gfx1030"
	.amdhsa_code_object_version 6
	.protected	bluestein_single_back_len306_dim1_half_op_CI_CI ; -- Begin function bluestein_single_back_len306_dim1_half_op_CI_CI
	.globl	bluestein_single_back_len306_dim1_half_op_CI_CI
	.p2align	8
	.type	bluestein_single_back_len306_dim1_half_op_CI_CI,@function
bluestein_single_back_len306_dim1_half_op_CI_CI: ; @bluestein_single_back_len306_dim1_half_op_CI_CI
; %bb.0:
	s_load_dwordx4 s[0:3], s[4:5], 0x28
	v_mul_u32_u24_e32 v1, 0x788, v0
	v_lshrrev_b32_e32 v1, 16, v1
	v_mad_u64_u32 v[8:9], null, s6, 7, v[1:2]
	v_mov_b32_e32 v9, 0
                                        ; kill: def $vgpr2 killed $sgpr0 killed $exec
	s_waitcnt lgkmcnt(0)
	v_cmp_gt_u64_e32 vcc_lo, s[0:1], v[8:9]
	s_and_saveexec_b32 s0, vcc_lo
	s_cbranch_execz .LBB0_23
; %bb.1:
	v_mul_hi_u32 v2, 0x24924925, v8
	v_mul_lo_u16 v1, v1, 34
	s_clause 0x1
	s_load_dwordx2 s[12:13], s[4:5], 0x0
	s_load_dwordx2 s[14:15], s[4:5], 0x38
	v_sub_nc_u16 v0, v0, v1
	v_sub_nc_u32_e32 v3, v8, v2
	v_and_b32_e32 v28, 0xffff, v0
	v_cmp_gt_u16_e32 vcc_lo, 18, v0
	v_lshrrev_b32_e32 v3, 1, v3
	v_lshlrev_b32_e32 v27, 2, v28
	v_or_b32_e32 v26, 0x120, v28
	v_add_nc_u32_e32 v2, v3, v2
	v_lshrrev_b32_e32 v2, 2, v2
	v_mul_lo_u32 v2, v2, 7
	v_sub_nc_u32_e32 v1, v8, v2
	v_mul_u32_u24_e32 v41, 0x132, v1
	v_lshlrev_b32_e32 v29, 2, v41
	s_and_saveexec_b32 s1, vcc_lo
	s_cbranch_execz .LBB0_3
; %bb.2:
	s_load_dwordx2 s[6:7], s[4:5], 0x18
	v_lshl_add_u32 v39, v28, 2, v29
	v_add_nc_u32_e32 v43, v29, v27
	s_waitcnt lgkmcnt(0)
	s_load_dwordx4 s[8:11], s[6:7], 0x0
	s_waitcnt lgkmcnt(0)
	v_mad_u64_u32 v[0:1], null, s10, v8, 0
	v_mad_u64_u32 v[2:3], null, s8, v28, 0
	;; [unrolled: 1-line block ×3, first 2 shown]
	s_mul_i32 s0, s9, 0x48
	s_mul_hi_u32 s6, s8, 0x48
	s_mul_i32 s7, s8, 0x48
	s_add_i32 s6, s6, s0
	v_mad_u64_u32 v[6:7], null, s11, v8, v[1:2]
	v_mov_b32_e32 v1, v5
	v_mad_u64_u32 v[9:10], null, s9, v28, v[3:4]
	v_mad_u64_u32 v[10:11], null, s9, v26, v[1:2]
	v_mov_b32_e32 v1, v6
	v_mov_b32_e32 v3, v9
	v_lshlrev_b64 v[0:1], 2, v[0:1]
	v_mov_b32_e32 v5, v10
	v_lshlrev_b64 v[2:3], 2, v[2:3]
	v_add_co_u32 v6, s0, s2, v0
	v_add_co_ci_u32_e64 v7, s0, s3, v1, s0
	v_lshlrev_b64 v[0:1], 2, v[4:5]
	v_add_co_u32 v2, s0, v6, v2
	v_add_co_ci_u32_e64 v3, s0, v7, v3, s0
	v_add_co_u32 v0, s0, v6, v0
	v_add_co_ci_u32_e64 v1, s0, v7, v1, s0
	;; [unrolled: 2-line block ×3, first 2 shown]
	global_load_dword v6, v27, s[12:13]
	global_load_dword v7, v[2:3], off
	global_load_dword v9, v27, s[12:13] offset:1152
	s_clause 0x1
	global_load_dword v10, v[0:1], off
	global_load_dword v11, v[4:5], off
	v_add_co_u32 v0, s0, v4, s7
	v_add_co_ci_u32_e64 v1, s0, s6, v5, s0
	global_load_dword v4, v27, s[12:13] offset:72
	v_add_co_u32 v2, s0, v0, s7
	v_add_co_ci_u32_e64 v3, s0, s6, v1, s0
	global_load_dword v5, v[0:1], off
	global_load_dword v12, v27, s[12:13] offset:144
	global_load_dword v13, v[2:3], off
	v_add_co_u32 v0, s0, v2, s7
	v_add_co_ci_u32_e64 v1, s0, s6, v3, s0
	s_clause 0x1
	global_load_dword v14, v27, s[12:13] offset:216
	global_load_dword v15, v27, s[12:13] offset:288
	v_add_co_u32 v2, s0, v0, s7
	v_add_co_ci_u32_e64 v3, s0, s6, v1, s0
	global_load_dword v16, v[0:1], off
	v_add_co_u32 v0, s0, v2, s7
	v_add_co_ci_u32_e64 v1, s0, s6, v3, s0
	global_load_dword v17, v[2:3], off
	s_clause 0x2
	global_load_dword v18, v27, s[12:13] offset:360
	global_load_dword v19, v27, s[12:13] offset:432
	;; [unrolled: 1-line block ×3, first 2 shown]
	global_load_dword v21, v[0:1], off
	v_add_co_u32 v0, s0, v0, s7
	v_add_co_ci_u32_e64 v1, s0, s6, v1, s0
	global_load_dword v22, v27, s[12:13] offset:576
	v_add_co_u32 v2, s0, v0, s7
	v_add_co_ci_u32_e64 v3, s0, s6, v1, s0
	global_load_dword v23, v[0:1], off
	v_add_co_u32 v0, s0, v2, s7
	v_add_co_ci_u32_e64 v1, s0, s6, v3, s0
	global_load_dword v24, v[2:3], off
	v_add_co_u32 v2, s0, v0, s7
	v_add_co_ci_u32_e64 v3, s0, s6, v1, s0
	global_load_dword v25, v27, s[12:13] offset:648
	global_load_dword v30, v[0:1], off
	global_load_dword v31, v[2:3], off
	v_add_co_u32 v0, s0, v2, s7
	v_add_co_ci_u32_e64 v1, s0, s6, v3, s0
	s_clause 0x2
	global_load_dword v32, v27, s[12:13] offset:720
	global_load_dword v33, v27, s[12:13] offset:792
	;; [unrolled: 1-line block ×3, first 2 shown]
	v_add_co_u32 v2, s0, v0, s7
	v_add_co_ci_u32_e64 v3, s0, s6, v1, s0
	global_load_dword v35, v[0:1], off
	v_add_co_u32 v0, s0, v2, s7
	v_add_co_ci_u32_e64 v1, s0, s6, v3, s0
	global_load_dword v36, v[2:3], off
	;; [unrolled: 3-line block ×3, first 2 shown]
	v_add_co_u32 v0, s0, v2, s7
	v_add_co_ci_u32_e64 v1, s0, s6, v3, s0
	global_load_dword v38, v27, s[12:13] offset:936
	global_load_dword v2, v[2:3], off
	global_load_dword v0, v[0:1], off
	s_clause 0x1
	global_load_dword v1, v27, s[12:13] offset:1008
	global_load_dword v3, v27, s[12:13] offset:1080
	s_waitcnt vmcnt(32)
	v_lshrrev_b32_e32 v40, 16, v7
	v_mul_f16_sdwa v42, v6, v7 dst_sel:DWORD dst_unused:UNUSED_PAD src0_sel:WORD_1 src1_sel:DWORD
	s_waitcnt vmcnt(30)
	v_lshrrev_b32_e32 v44, 16, v10
	v_mul_f16_sdwa v45, v9, v10 dst_sel:DWORD dst_unused:UNUSED_PAD src0_sel:WORD_1 src1_sel:DWORD
	v_mul_f16_sdwa v46, v6, v40 dst_sel:DWORD dst_unused:UNUSED_PAD src0_sel:WORD_1 src1_sel:DWORD
	v_fma_f16 v40, v6, v40, -v42
	s_waitcnt vmcnt(29)
	v_lshrrev_b32_e32 v42, 16, v11
	s_waitcnt vmcnt(28)
	v_mul_f16_sdwa v47, v4, v11 dst_sel:DWORD dst_unused:UNUSED_PAD src0_sel:WORD_1 src1_sel:DWORD
	v_mul_f16_sdwa v48, v9, v44 dst_sel:DWORD dst_unused:UNUSED_PAD src0_sel:WORD_1 src1_sel:DWORD
	v_fmac_f16_e32 v46, v6, v7
	v_fma_f16 v44, v9, v44, -v45
	v_mul_f16_sdwa v6, v4, v42 dst_sel:DWORD dst_unused:UNUSED_PAD src0_sel:WORD_1 src1_sel:DWORD
	v_fma_f16 v7, v4, v42, -v47
	s_waitcnt vmcnt(27)
	v_lshrrev_b32_e32 v42, 16, v5
	s_waitcnt vmcnt(26)
	v_mul_f16_sdwa v45, v12, v5 dst_sel:DWORD dst_unused:UNUSED_PAD src0_sel:WORD_1 src1_sel:DWORD
	v_fmac_f16_e32 v48, v9, v10
	v_pack_b32_f16 v9, v46, v40
	v_fmac_f16_e32 v6, v4, v11
	v_mul_f16_sdwa v4, v12, v42 dst_sel:DWORD dst_unused:UNUSED_PAD src0_sel:WORD_1 src1_sel:DWORD
	s_waitcnt vmcnt(25)
	v_lshrrev_b32_e32 v11, 16, v13
	v_fma_f16 v10, v12, v42, -v45
	s_waitcnt vmcnt(24)
	v_mul_f16_sdwa v40, v14, v13 dst_sel:DWORD dst_unused:UNUSED_PAD src0_sel:WORD_1 src1_sel:DWORD
	ds_write_b32 v39, v9
	v_pack_b32_f16 v6, v6, v7
	v_fmac_f16_e32 v4, v12, v5
	v_mul_f16_sdwa v5, v14, v11 dst_sel:DWORD dst_unused:UNUSED_PAD src0_sel:WORD_1 src1_sel:DWORD
	s_waitcnt vmcnt(22)
	v_lshrrev_b32_e32 v7, 16, v16
	v_mul_f16_sdwa v9, v15, v16 dst_sel:DWORD dst_unused:UNUSED_PAD src0_sel:WORD_1 src1_sel:DWORD
	v_fma_f16 v11, v14, v11, -v40
	v_pack_b32_f16 v4, v4, v10
	v_fmac_f16_e32 v5, v14, v13
	v_mul_f16_sdwa v10, v15, v7 dst_sel:DWORD dst_unused:UNUSED_PAD src0_sel:WORD_1 src1_sel:DWORD
	v_fma_f16 v7, v15, v7, -v9
	s_waitcnt vmcnt(21)
	v_lshrrev_b32_e32 v9, 16, v17
	s_waitcnt vmcnt(20)
	v_mul_f16_sdwa v12, v18, v17 dst_sel:DWORD dst_unused:UNUSED_PAD src0_sel:WORD_1 src1_sel:DWORD
	ds_write2_b32 v43, v6, v4 offset0:18 offset1:36
	v_pack_b32_f16 v4, v5, v11
	v_fmac_f16_e32 v10, v15, v16
	v_mul_f16_sdwa v5, v18, v9 dst_sel:DWORD dst_unused:UNUSED_PAD src0_sel:WORD_1 src1_sel:DWORD
	s_waitcnt vmcnt(17)
	v_lshrrev_b32_e32 v6, 16, v21
	v_mul_f16_sdwa v11, v19, v21 dst_sel:DWORD dst_unused:UNUSED_PAD src0_sel:WORD_1 src1_sel:DWORD
	v_fma_f16 v9, v18, v9, -v12
	v_pack_b32_f16 v7, v10, v7
	v_fmac_f16_e32 v5, v18, v17
	v_mul_f16_sdwa v10, v19, v6 dst_sel:DWORD dst_unused:UNUSED_PAD src0_sel:WORD_1 src1_sel:DWORD
	v_fma_f16 v6, v19, v6, -v11
	s_waitcnt vmcnt(15)
	v_lshrrev_b32_e32 v11, 16, v23
	v_mul_f16_sdwa v12, v20, v23 dst_sel:DWORD dst_unused:UNUSED_PAD src0_sel:WORD_1 src1_sel:DWORD
	ds_write2_b32 v43, v4, v7 offset0:54 offset1:72
	v_pack_b32_f16 v4, v5, v9
	v_fmac_f16_e32 v10, v19, v21
	v_mul_f16_sdwa v5, v20, v11 dst_sel:DWORD dst_unused:UNUSED_PAD src0_sel:WORD_1 src1_sel:DWORD
	s_waitcnt vmcnt(14)
	v_lshrrev_b32_e32 v7, 16, v24
	v_mul_f16_sdwa v9, v22, v24 dst_sel:DWORD dst_unused:UNUSED_PAD src0_sel:WORD_1 src1_sel:DWORD
	v_fma_f16 v11, v20, v11, -v12
	v_pack_b32_f16 v6, v10, v6
	v_fmac_f16_e32 v5, v20, v23
	v_mul_f16_sdwa v10, v22, v7 dst_sel:DWORD dst_unused:UNUSED_PAD src0_sel:WORD_1 src1_sel:DWORD
	v_fma_f16 v7, v22, v7, -v9
	s_waitcnt vmcnt(12)
	v_lshrrev_b32_e32 v9, 16, v30
	v_mul_f16_sdwa v12, v25, v30 dst_sel:DWORD dst_unused:UNUSED_PAD src0_sel:WORD_1 src1_sel:DWORD
	ds_write2_b32 v43, v4, v6 offset0:90 offset1:108
	v_pack_b32_f16 v4, v5, v11
	v_fmac_f16_e32 v10, v22, v24
	v_mul_f16_sdwa v5, v25, v9 dst_sel:DWORD dst_unused:UNUSED_PAD src0_sel:WORD_1 src1_sel:DWORD
	s_waitcnt vmcnt(11)
	v_lshrrev_b32_e32 v6, 16, v31
	s_waitcnt vmcnt(10)
	v_mul_f16_sdwa v11, v32, v31 dst_sel:DWORD dst_unused:UNUSED_PAD src0_sel:WORD_1 src1_sel:DWORD
	v_fma_f16 v9, v25, v9, -v12
	v_pack_b32_f16 v7, v10, v7
	v_fmac_f16_e32 v5, v25, v30
	v_mul_f16_sdwa v10, v32, v6 dst_sel:DWORD dst_unused:UNUSED_PAD src0_sel:WORD_1 src1_sel:DWORD
	v_fma_f16 v6, v32, v6, -v11
	s_waitcnt vmcnt(7)
	v_lshrrev_b32_e32 v11, 16, v35
	v_mul_f16_sdwa v12, v33, v35 dst_sel:DWORD dst_unused:UNUSED_PAD src0_sel:WORD_1 src1_sel:DWORD
	ds_write2_b32 v43, v4, v7 offset0:126 offset1:144
	v_pack_b32_f16 v4, v5, v9
	v_fmac_f16_e32 v10, v32, v31
	s_waitcnt vmcnt(6)
	v_lshrrev_b32_e32 v5, 16, v36
	v_mul_f16_sdwa v7, v33, v11 dst_sel:DWORD dst_unused:UNUSED_PAD src0_sel:WORD_1 src1_sel:DWORD
	v_fma_f16 v9, v33, v11, -v12
	v_mul_f16_sdwa v11, v34, v36 dst_sel:DWORD dst_unused:UNUSED_PAD src0_sel:WORD_1 src1_sel:DWORD
	v_pack_b32_f16 v6, v10, v6
	v_mul_f16_sdwa v10, v34, v5 dst_sel:DWORD dst_unused:UNUSED_PAD src0_sel:WORD_1 src1_sel:DWORD
	s_waitcnt vmcnt(5)
	v_lshrrev_b32_e32 v12, 16, v37
	s_waitcnt vmcnt(3)
	v_lshrrev_b32_e32 v13, 16, v2
	v_fma_f16 v5, v34, v5, -v11
	v_mul_f16_sdwa v11, v38, v37 dst_sel:DWORD dst_unused:UNUSED_PAD src0_sel:WORD_1 src1_sel:DWORD
	s_waitcnt vmcnt(2)
	v_lshrrev_b32_e32 v15, 16, v0
	v_mul_f16_sdwa v14, v38, v12 dst_sel:DWORD dst_unused:UNUSED_PAD src0_sel:WORD_1 src1_sel:DWORD
	s_waitcnt vmcnt(1)
	v_mul_f16_sdwa v16, v1, v13 dst_sel:DWORD dst_unused:UNUSED_PAD src0_sel:WORD_1 src1_sel:DWORD
	s_waitcnt vmcnt(0)
	v_mul_f16_sdwa v17, v3, v0 dst_sel:DWORD dst_unused:UNUSED_PAD src0_sel:WORD_1 src1_sel:DWORD
	v_fma_f16 v11, v38, v12, -v11
	v_mul_f16_sdwa v12, v1, v2 dst_sel:DWORD dst_unused:UNUSED_PAD src0_sel:WORD_1 src1_sel:DWORD
	v_mul_f16_sdwa v18, v3, v15 dst_sel:DWORD dst_unused:UNUSED_PAD src0_sel:WORD_1 src1_sel:DWORD
	v_fmac_f16_e32 v7, v33, v35
	v_fmac_f16_e32 v10, v34, v36
	;; [unrolled: 1-line block ×3, first 2 shown]
	v_fma_f16 v12, v1, v13, -v12
	v_fmac_f16_e32 v16, v1, v2
	v_fma_f16 v1, v3, v15, -v17
	v_fmac_f16_e32 v18, v3, v0
	v_pack_b32_f16 v0, v7, v9
	v_pack_b32_f16 v2, v10, v5
	;; [unrolled: 1-line block ×6, first 2 shown]
	v_add_nc_u32_e32 v7, 0x400, v43
                                        ; kill: def $vgpr9 killed $sgpr0 killed $exec
	ds_write2_b32 v43, v4, v6 offset0:162 offset1:180
	ds_write2_b32 v43, v0, v2 offset0:198 offset1:216
	;; [unrolled: 1-line block ×4, first 2 shown]
.LBB0_3:
	s_or_b32 exec_lo, exec_lo, s1
	v_mov_b32_e32 v2, 0
	s_waitcnt lgkmcnt(0)
	s_barrier
	buffer_gl0_inv
                                        ; implicit-def: $vgpr18
                                        ; implicit-def: $vgpr6
                                        ; implicit-def: $vgpr22
                                        ; implicit-def: $vgpr4
                                        ; implicit-def: $vgpr20
                                        ; implicit-def: $vgpr0
                                        ; implicit-def: $vgpr24
                                        ; implicit-def: $vgpr15
	s_and_saveexec_b32 s0, vcc_lo
	s_cbranch_execz .LBB0_5
; %bb.4:
	v_lshl_add_u32 v9, v41, 2, v27
	ds_read2_b32 v[2:3], v9 offset1:18
	ds_read2_b32 v[23:24], v9 offset0:36 offset1:54
	ds_read2_b32 v[19:20], v9 offset0:72 offset1:90
	v_add_nc_u32_e32 v0, 0x200, v9
	ds_read2_b32 v[21:22], v9 offset0:108 offset1:126
	ds_read2_b32 v[17:18], v9 offset0:144 offset1:162
	;; [unrolled: 1-line block ×5, first 2 shown]
	ds_read_b32 v15, v9 offset:1152
.LBB0_5:
	s_or_b32 exec_lo, exec_lo, s0
	s_waitcnt lgkmcnt(0)
	v_pk_add_f16 v32, v3, v15 neg_lo:[0,1] neg_hi:[0,1]
	v_mov_b32_e32 v25, 0xb5c8
	v_mov_b32_e32 v11, 0xb964
	v_pk_add_f16 v59, v15, v3
	v_pk_add_f16 v37, v23, v1 neg_lo:[0,1] neg_hi:[0,1]
	v_mov_b32_e32 v12, 0xbb29
	v_mul_f16_sdwa v36, v32, v25 dst_sel:DWORD dst_unused:UNUSED_PAD src0_sel:WORD_1 src1_sel:DWORD
	v_mul_f16_sdwa v43, v32, v11 dst_sel:DWORD dst_unused:UNUSED_PAD src0_sel:WORD_1 src1_sel:DWORD
	v_mov_b32_e32 v31, 0xbbf7
	v_pk_add_f16 v58, v1, v23
	v_mul_f16_sdwa v39, v37, v11 dst_sel:DWORD dst_unused:UNUSED_PAD src0_sel:WORD_1 src1_sel:DWORD
	v_fmamk_f16 v9, v59, 0x3b76, v36
	v_pk_add_f16 v35, v24, v0 neg_lo:[0,1] neg_hi:[0,1]
	v_fmamk_f16 v10, v59, 0x39e9, v43
	v_mul_f16_sdwa v40, v37, v31 dst_sel:DWORD dst_unused:UNUSED_PAD src0_sel:WORD_1 src1_sel:DWORD
	v_mov_b32_e32 v13, 0xba62
	v_fmamk_f16 v14, v58, 0x39e9, v39
	v_pk_add_f16 v56, v0, v24
	v_mul_f16_sdwa v42, v35, v12 dst_sel:DWORD dst_unused:UNUSED_PAD src0_sel:WORD_1 src1_sel:DWORD
	v_pk_add_f16 v34, v19, v5 neg_lo:[0,1] neg_hi:[0,1]
	v_add_f16_e32 v9, v9, v2
	v_mov_b32_e32 v16, 0xbbb2
	v_fmamk_f16 v48, v58, 0x2de8, v40
	v_mov_b32_e32 v30, 0xb1e1
	v_mul_f16_sdwa v44, v35, v13 dst_sel:DWORD dst_unused:UNUSED_PAD src0_sel:WORD_1 src1_sel:DWORD
	v_fmamk_f16 v50, v56, 0x3722, v42
	v_pk_add_f16 v55, v5, v19
	v_pk_add_f16 v33, v20, v4 neg_lo:[0,1] neg_hi:[0,1]
	v_mul_f16_sdwa v46, v34, v31 dst_sel:DWORD dst_unused:UNUSED_PAD src0_sel:WORD_1 src1_sel:DWORD
	v_add_f16_e32 v10, v10, v2
	v_add_f16_e32 v9, v14, v9
	v_mov_b32_e32 v60, 0x3836
	v_fmamk_f16 v51, v56, 0xb8d2, v44
	v_mul_f16_sdwa v47, v34, v30 dst_sel:DWORD dst_unused:UNUSED_PAD src0_sel:WORD_1 src1_sel:DWORD
	v_pk_add_f16 v57, v4, v20
	v_mul_f16_sdwa v45, v33, v16 dst_sel:DWORD dst_unused:UNUSED_PAD src0_sel:WORD_1 src1_sel:DWORD
	v_fmamk_f16 v52, v55, 0x2de8, v46
	v_pk_add_f16 v99, v21, v7 neg_lo:[0,1] neg_hi:[0,1]
	v_add_f16_e32 v10, v48, v10
	v_add_f16_e32 v9, v50, v9
	v_mov_b32_e32 v38, 0xb836
	v_mov_b32_e32 v70, 0x3bb2
	v_fmamk_f16 v53, v55, 0xbbdd, v47
	v_fmamk_f16 v54, v57, 0xb461, v45
	v_mul_f16_sdwa v49, v33, v60 dst_sel:DWORD dst_unused:UNUSED_PAD src0_sel:WORD_1 src1_sel:DWORD
	v_pk_add_f16 v65, v7, v21
	v_mul_f16_sdwa v48, v99, v13 dst_sel:DWORD dst_unused:UNUSED_PAD src0_sel:WORD_1 src1_sel:DWORD
	v_add_f16_e32 v10, v51, v10
	v_add_f16_e32 v9, v52, v9
	v_pk_add_f16 v77, v22, v6 neg_lo:[0,1] neg_hi:[0,1]
	v_fmamk_f16 v14, v57, 0xbacd, v49
	v_mul_f16_sdwa v50, v99, v70 dst_sel:DWORD dst_unused:UNUSED_PAD src0_sel:WORD_1 src1_sel:DWORD
	v_fmamk_f16 v61, v65, 0xb8d2, v48
	v_add_f16_e32 v10, v53, v10
	v_pk_add_f16 v69, v6, v22
	v_add_f16_e32 v9, v54, v9
	v_mov_b32_e32 v81, 0x3b29
	v_mul_f16_sdwa v51, v77, v38 dst_sel:DWORD dst_unused:UNUSED_PAD src0_sel:WORD_1 src1_sel:DWORD
	v_pk_add_f16 v126, v17, v18 neg_lo:[0,1] neg_hi:[0,1]
	v_fmamk_f16 v62, v65, 0xb461, v50
	v_add_f16_e32 v10, v14, v10
	v_add_f16_e32 v9, v61, v9
	v_mul_f16_sdwa v53, v77, v81 dst_sel:DWORD dst_unused:UNUSED_PAD src0_sel:WORD_1 src1_sel:DWORD
	v_fmamk_f16 v14, v69, 0xbacd, v51
	v_pk_add_f16 v72, v18, v17
	v_mul_f16_sdwa v52, v126, v30 dst_sel:DWORD dst_unused:UNUSED_PAD src0_sel:WORD_1 src1_sel:DWORD
	v_add_f16_e32 v10, v62, v10
	v_fmamk_f16 v54, v69, 0x3722, v53
	v_mul_f16_sdwa v61, v32, v12 dst_sel:DWORD dst_unused:UNUSED_PAD src0_sel:WORD_1 src1_sel:DWORD
	v_add_f16_e32 v9, v14, v9
	v_fmamk_f16 v14, v72, 0xbbdd, v52
	;; [unrolled: 3-line block ×3, first 2 shown]
	v_mul_f16_sdwa v63, v37, v13 dst_sel:DWORD dst_unused:UNUSED_PAD src0_sel:WORD_1 src1_sel:DWORD
	v_add_f16_e32 v10, v14, v9
	v_mov_b32_e32 v9, 0x31e1
	v_mul_f16_sdwa v74, v37, v30 dst_sel:DWORD dst_unused:UNUSED_PAD src0_sel:WORD_1 src1_sel:DWORD
	v_add_f16_e32 v14, v54, v2
	v_fmamk_f16 v54, v59, 0x2de8, v73
	v_fmamk_f16 v62, v58, 0xb8d2, v63
	v_mul_f16_sdwa v66, v35, v9 dst_sel:DWORD dst_unused:UNUSED_PAD src0_sel:WORD_1 src1_sel:DWORD
	v_mov_b32_e32 v9, 0x35c8
	v_fmamk_f16 v64, v58, 0xbbdd, v74
	v_add_f16_e32 v54, v54, v2
	v_add_f16_e32 v14, v62, v14
	v_fmamk_f16 v67, v56, 0xbbdd, v66
	v_mul_f16_sdwa v76, v35, v70 dst_sel:DWORD dst_unused:UNUSED_PAD src0_sel:WORD_1 src1_sel:DWORD
	v_mul_f16_sdwa v62, v34, v70 dst_sel:DWORD dst_unused:UNUSED_PAD src0_sel:WORD_1 src1_sel:DWORD
	v_mov_b32_e32 v117, 0x3964
	v_add_f16_e32 v68, v64, v54
	v_add_f16_e32 v14, v67, v14
	v_fmamk_f16 v67, v56, 0xb461, v76
	v_fmamk_f16 v75, v55, 0xb461, v62
	v_mul_f16_sdwa v79, v34, v9 dst_sel:DWORD dst_unused:UNUSED_PAD src0_sel:WORD_1 src1_sel:DWORD
	v_mul_f16_sdwa v64, v33, v117 dst_sel:DWORD dst_unused:UNUSED_PAD src0_sel:WORD_1 src1_sel:DWORD
	;; [unrolled: 1-line block ×3, first 2 shown]
	v_add_f16_e32 v9, v67, v68
	v_add_f16_e32 v14, v75, v14
	v_fmamk_f16 v68, v55, 0x3b76, v79
	v_fmamk_f16 v75, v57, 0x39e9, v64
	v_mul_f16_sdwa v80, v33, v12 dst_sel:DWORD dst_unused:UNUSED_PAD src0_sel:WORD_1 src1_sel:DWORD
	v_mul_f16_sdwa v67, v99, v25 dst_sel:DWORD dst_unused:UNUSED_PAD src0_sel:WORD_1 src1_sel:DWORD
	;; [unrolled: 1-line block ×3, first 2 shown]
	v_add_f16_e32 v9, v68, v9
	v_add_f16_e32 v14, v75, v14
	v_fmamk_f16 v75, v57, 0x3722, v80
	v_fmamk_f16 v83, v65, 0x3b76, v67
	v_mov_b32_e32 v94, 0x3a62
	v_fmamk_f16 v82, v72, 0x3b76, v54
	v_mul_f16_sdwa v90, v32, v16 dst_sel:DWORD dst_unused:UNUSED_PAD src0_sel:WORD_1 src1_sel:DWORD
	v_add_f16_e32 v84, v75, v9
	v_add_f16_e32 v14, v83, v14
	v_fmamk_f16 v83, v65, 0xbacd, v78
	v_mul_f16_sdwa v75, v77, v94 dst_sel:DWORD dst_unused:UNUSED_PAD src0_sel:WORD_1 src1_sel:DWORD
	v_mul_f16_sdwa v68, v77, v31 dst_sel:DWORD dst_unused:UNUSED_PAD src0_sel:WORD_1 src1_sel:DWORD
	v_add_f16_e32 v9, v82, v71
	v_mul_f16_sdwa v92, v37, v60 dst_sel:DWORD dst_unused:UNUSED_PAD src0_sel:WORD_1 src1_sel:DWORD
	v_add_f16_e32 v71, v83, v84
	v_fmamk_f16 v82, v69, 0xb8d2, v75
	v_fmamk_f16 v83, v59, 0xb461, v90
	v_mul_f16_sdwa v108, v32, v13 dst_sel:DWORD dst_unused:UNUSED_PAD src0_sel:WORD_1 src1_sel:DWORD
	v_fmamk_f16 v85, v69, 0x2de8, v68
	v_mul_f16_sdwa v60, v126, v38 dst_sel:DWORD dst_unused:UNUSED_PAD src0_sel:WORD_1 src1_sel:DWORD
	v_add_f16_e32 v71, v82, v71
	v_add_f16_e32 v82, v83, v2
	v_fmamk_f16 v83, v58, 0xbacd, v92
	v_fmamk_f16 v84, v59, 0xb8d2, v108
	v_mul_f16_sdwa v110, v37, v70 dst_sel:DWORD dst_unused:UNUSED_PAD src0_sel:WORD_1 src1_sel:DWORD
	v_mul_f16_sdwa v87, v35, v117 dst_sel:DWORD dst_unused:UNUSED_PAD src0_sel:WORD_1 src1_sel:DWORD
	v_add_f16_e32 v14, v85, v14
	v_fmamk_f16 v70, v72, 0xbacd, v60
	v_add_f16_e32 v82, v83, v82
	v_add_f16_e32 v83, v84, v2
	v_fmamk_f16 v84, v58, 0xb461, v110
	v_fmamk_f16 v85, v56, 0x39e9, v87
	v_mul_f16_sdwa v112, v35, v25 dst_sel:DWORD dst_unused:UNUSED_PAD src0_sel:WORD_1 src1_sel:DWORD
	v_mul_f16_sdwa v89, v34, v12 dst_sel:DWORD dst_unused:UNUSED_PAD src0_sel:WORD_1 src1_sel:DWORD
	v_add_f16_e32 v12, v70, v14
	v_add_f16_e32 v14, v84, v83
	;; [unrolled: 1-line block ×3, first 2 shown]
	v_fmamk_f16 v82, v56, 0x3b76, v112
	v_fmamk_f16 v83, v55, 0x3722, v89
	v_mul_f16_sdwa v102, v34, v38 dst_sel:DWORD dst_unused:UNUSED_PAD src0_sel:WORD_1 src1_sel:DWORD
	v_mul_f16_sdwa v86, v33, v30 dst_sel:DWORD dst_unused:UNUSED_PAD src0_sel:WORD_1 src1_sel:DWORD
	v_mov_b32_e32 v84, 0x3bf7
	v_add_f16_e32 v14, v82, v14
	v_add_f16_e32 v70, v83, v70
	v_fmamk_f16 v83, v55, 0xbacd, v102
	v_fmamk_f16 v85, v57, 0xbbdd, v86
	v_mul_f16_sdwa v104, v33, v84 dst_sel:DWORD dst_unused:UNUSED_PAD src0_sel:WORD_1 src1_sel:DWORD
	v_mul_f16_sdwa v88, v99, v84 dst_sel:DWORD dst_unused:UNUSED_PAD src0_sel:WORD_1 src1_sel:DWORD
	;; [unrolled: 1-line block ×3, first 2 shown]
	v_add_f16_e32 v14, v83, v14
	v_add_f16_e32 v70, v85, v70
	v_fmamk_f16 v83, v57, 0x2de8, v104
	v_fmamk_f16 v84, v65, 0x2de8, v88
	v_mul_f16_sdwa v91, v77, v25 dst_sel:DWORD dst_unused:UNUSED_PAD src0_sel:WORD_1 src1_sel:DWORD
	v_mul_f16_sdwa v82, v126, v117 dst_sel:DWORD dst_unused:UNUSED_PAD src0_sel:WORD_1 src1_sel:DWORD
	;; [unrolled: 1-line block ×3, first 2 shown]
	v_add_f16_e32 v14, v83, v14
	v_add_f16_e32 v70, v84, v70
	v_fmamk_f16 v83, v65, 0x39e9, v105
	v_fmamk_f16 v84, v69, 0x3b76, v91
	;; [unrolled: 1-line block ×3, first 2 shown]
	v_mul_f16_sdwa v106, v77, v30 dst_sel:DWORD dst_unused:UNUSED_PAD src0_sel:WORD_1 src1_sel:DWORD
	v_lshrrev_b32_e32 v132, 16, v59
	v_add_f16_e32 v13, v83, v14
	v_add_f16_e32 v14, v84, v70
	v_fmamk_f16 v83, v72, 0xb8d2, v93
	v_add_f16_e32 v11, v11, v71
	v_fmamk_f16 v71, v69, 0xbbdd, v106
	v_mul_f16_e32 v70, 0xb5c8, v32
	v_mul_f16_sdwa v103, v126, v81 dst_sel:DWORD dst_unused:UNUSED_PAD src0_sel:WORD_1 src1_sel:DWORD
	v_add_f16_e32 v14, v83, v14
	v_mul_f16_e32 v83, 0xb964, v32
	v_add_f16_e32 v13, v71, v13
	v_fma_f16 v95, v132, 0x3b76, -v70
	v_lshrrev_b32_e32 v135, 16, v58
	v_mul_f16_e32 v71, 0xb964, v37
	v_fma_f16 v96, v132, 0x39e9, -v83
	v_mul_f16_e32 v84, 0xbbf7, v37
	v_fmamk_f16 v85, v72, 0x3722, v103
	v_add_f16_sdwa v97, v95, v2 dst_sel:DWORD dst_unused:UNUSED_PAD src0_sel:DWORD src1_sel:WORD_1
	v_mul_f16_e32 v95, 0xbb29, v32
	v_fma_f16 v98, v135, 0x39e9, -v71
	v_add_f16_sdwa v96, v96, v2 dst_sel:DWORD dst_unused:UNUSED_PAD src0_sel:DWORD src1_sel:WORD_1
	v_fma_f16 v100, v135, 0x2de8, -v84
	v_mul_f16_e32 v107, 0xbbf7, v32
	v_mul_f16_e32 v119, 0xbbb2, v32
	v_add_f16_e32 v13, v85, v13
	v_fma_f16 v85, v132, 0x3722, -v95
	v_add_f16_e32 v98, v98, v97
	v_add_f16_e32 v100, v100, v96
	v_mul_f16_e32 v96, 0xba62, v37
	v_fma_f16 v97, v132, 0x2de8, -v107
	v_mul_f16_e32 v111, 0xb1e1, v37
	v_fma_f16 v101, v132, 0xb461, -v119
	v_mul_f16_e32 v120, 0x3836, v37
	v_add_f16_sdwa v85, v85, v2 dst_sel:DWORD dst_unused:UNUSED_PAD src0_sel:DWORD src1_sel:WORD_1
	v_fma_f16 v109, v135, 0xb8d2, -v96
	v_add_f16_sdwa v97, v97, v2 dst_sel:DWORD dst_unused:UNUSED_PAD src0_sel:DWORD src1_sel:WORD_1
	v_fma_f16 v113, v135, 0xbbdd, -v111
	;; [unrolled: 2-line block ×3, first 2 shown]
	v_mul_f16_e32 v131, 0xba62, v32
	v_mul_f16_sdwa v140, v32, v38 dst_sel:DWORD dst_unused:UNUSED_PAD src0_sel:WORD_1 src1_sel:DWORD
	v_add_f16_e32 v85, v109, v85
	v_add_f16_e32 v38, v113, v97
	v_add_f16_e32 v109, v114, v101
	v_fma_f16 v97, v132, 0xb8d2, -v131
	v_mul_f16_e32 v133, 0x3bb2, v37
	v_fmamk_f16 v101, v59, 0xbacd, v140
	v_mul_f16_sdwa v141, v37, v81 dst_sel:DWORD dst_unused:UNUSED_PAD src0_sel:WORD_1 src1_sel:DWORD
	v_mul_f16_e32 v149, 0xb836, v32
	v_add_f16_sdwa v81, v97, v2 dst_sel:DWORD dst_unused:UNUSED_PAD src0_sel:DWORD src1_sel:WORD_1
	v_fma_f16 v97, v135, 0xb461, -v133
	v_add_f16_e32 v101, v101, v2
	v_fmamk_f16 v113, v58, 0x3722, v141
	v_fma_f16 v114, v132, 0xbacd, -v149
	v_mul_f16_e32 v150, 0x3b29, v37
	v_pk_mul_f16 v32, 0xb1e1, v32 op_sel_hi:[0,1]
	v_add_f16_e32 v115, v97, v81
	v_add_f16_e32 v113, v113, v101
	v_add_f16_sdwa v101, v114, v2 dst_sel:DWORD dst_unused:UNUSED_PAD src0_sel:DWORD src1_sel:WORD_1
	v_fma_f16 v114, v135, 0x3722, -v150
	v_pk_mul_f16 v37, 0x35c8, v37 op_sel_hi:[0,1]
	v_pk_fma_f16 v116, 0xbbdd, v59, v32 op_sel:[0,0,1] op_sel_hi:[0,1,0] neg_lo:[0,0,1] neg_hi:[0,0,1]
	v_lshrrev_b32_e32 v139, 16, v56
	v_mul_f16_e32 v81, 0xbb29, v35
	v_mul_f16_e32 v97, 0xba62, v35
	v_add_f16_e32 v114, v114, v101
	v_pk_add_f16 v116, v116, v2
	v_pk_fma_f16 v121, 0x3b76, v58, v37 op_sel:[0,0,1] op_sel_hi:[0,1,0] neg_lo:[0,0,1] neg_hi:[0,0,1]
	v_fma_f16 v122, v139, 0x3722, -v81
	v_fma_f16 v123, v139, 0xb8d2, -v97
	v_mul_f16_e32 v101, 0x31e1, v35
	v_mul_f16_e32 v118, 0x3bb2, v35
	v_pk_add_f16 v116, v121, v116
	v_add_f16_e32 v98, v122, v98
	v_add_f16_e32 v121, v123, v100
	v_fma_f16 v100, v139, 0xbbdd, -v101
	v_fma_f16 v122, v139, 0xb461, -v118
	v_mul_f16_e32 v127, 0x3964, v35
	v_mul_f16_e32 v138, 0xb5c8, v35
	v_mul_f16_sdwa v152, v35, v31 dst_sel:DWORD dst_unused:UNUSED_PAD src0_sel:WORD_1 src1_sel:DWORD
	v_add_f16_e32 v31, v100, v85
	v_add_f16_e32 v38, v122, v38
	v_fma_f16 v85, v139, 0x39e9, -v127
	v_fma_f16 v100, v139, 0x3b76, -v138
	v_fmamk_f16 v122, v56, 0x2de8, v152
	v_mul_f16_e32 v156, 0xbbf7, v35
	v_pk_mul_f16 v35, 0xb836, v35 op_sel_hi:[0,1]
	v_add_f16_e32 v109, v85, v109
	v_add_f16_e32 v115, v100, v115
	;; [unrolled: 1-line block ×3, first 2 shown]
	v_fma_f16 v122, v139, 0x2de8, -v156
	v_pk_fma_f16 v124, 0xbacd, v56, v35 op_sel:[0,0,1] op_sel_hi:[0,1,0] neg_lo:[0,0,1] neg_hi:[0,0,1]
	v_lshrrev_b32_e32 v142, 16, v55
	v_mul_f16_e32 v85, 0xbbf7, v34
	v_mul_f16_e32 v100, 0xb1e1, v34
	;; [unrolled: 1-line block ×3, first 2 shown]
	v_add_f16_e32 v114, v122, v114
	v_pk_add_f16 v124, v124, v116
	v_fma_f16 v116, v142, 0x2de8, -v85
	v_fma_f16 v125, v142, 0xbbdd, -v100
	;; [unrolled: 1-line block ×3, first 2 shown]
	v_mul_f16_e32 v122, 0x35c8, v34
	v_mul_f16_e32 v130, 0xbb29, v34
	;; [unrolled: 1-line block ×3, first 2 shown]
	v_add_f16_e32 v98, v116, v98
	v_add_f16_e32 v121, v125, v121
	;; [unrolled: 1-line block ×3, first 2 shown]
	v_fma_f16 v116, v142, 0x3b76, -v122
	v_fma_f16 v125, v142, 0x3722, -v130
	v_mul_f16_e32 v148, 0xb836, v34
	v_mul_f16_sdwa v155, v34, v94 dst_sel:DWORD dst_unused:UNUSED_PAD src0_sel:WORD_1 src1_sel:DWORD
	v_fma_f16 v128, v142, 0xb8d2, -v159
	v_pk_mul_f16 v34, 0x3964, v34 op_sel_hi:[0,1]
	v_lshrrev_b32_e32 v143, 16, v57
	v_mul_f16_e32 v94, 0xbbb2, v33
	v_add_f16_e32 v38, v116, v38
	v_add_f16_e32 v109, v125, v109
	v_fma_f16 v116, v142, 0xbacd, -v148
	v_fmamk_f16 v125, v55, 0xb8d2, v155
	v_add_f16_e32 v128, v128, v114
	v_pk_fma_f16 v129, 0x39e9, v55, v34 op_sel:[0,0,1] op_sel_hi:[0,1,0] neg_lo:[0,0,1] neg_hi:[0,0,1]
	v_fma_f16 v134, v143, 0xb461, -v94
	v_mul_f16_e32 v114, 0x3836, v33
	v_add_f16_e32 v115, v116, v115
	v_add_f16_e32 v123, v125, v123
	v_mul_f16_e32 v116, 0x3964, v33
	v_mul_f16_e32 v125, 0xbb29, v33
	v_pk_add_f16 v124, v129, v124
	v_add_f16_e32 v129, v134, v98
	v_fma_f16 v98, v143, 0xbacd, -v114
	v_mul_f16_e32 v137, 0xb1e1, v33
	v_mul_f16_e32 v153, 0x3bf7, v33
	v_fma_f16 v134, v143, 0x39e9, -v116
	v_fma_f16 v136, v143, 0x3722, -v125
	v_add_f16_e32 v145, v98, v121
	v_fma_f16 v98, v143, 0xbbdd, -v137
	v_fma_f16 v121, v143, 0x2de8, -v153
	v_mul_f16_sdwa v160, v33, v25 dst_sel:DWORD dst_unused:UNUSED_PAD src0_sel:WORD_1 src1_sel:DWORD
	v_mul_f16_e32 v162, 0xb5c8, v33
	v_pk_mul_f16 v25, 0xba62, v33 op_sel_hi:[0,1]
	v_add_f16_e32 v31, v134, v31
	v_add_f16_e32 v38, v136, v38
	;; [unrolled: 1-line block ×4, first 2 shown]
	v_fmamk_f16 v121, v57, 0x3b76, v160
	v_fma_f16 v134, v143, 0x3b76, -v162
	v_pk_fma_f16 v136, 0xb8d2, v57, v25 op_sel:[0,0,1] op_sel_hi:[0,1,0] neg_lo:[0,0,1] neg_hi:[0,0,1]
	v_lshrrev_b32_e32 v146, 16, v65
	v_mul_f16_e32 v98, 0xba62, v99
	v_mul_f16_e32 v109, 0x3bb2, v99
	v_add_f16_e32 v123, v121, v123
	v_add_f16_e32 v134, v134, v128
	v_pk_add_f16 v136, v136, v124
	v_fma_f16 v124, v146, 0xb8d2, -v98
	v_fma_f16 v147, v146, 0xb461, -v109
	v_mul_f16_e32 v121, 0xb5c8, v99
	v_mul_f16_e32 v128, 0xb836, v99
	;; [unrolled: 1-line block ×3, first 2 shown]
	v_add_f16_e32 v129, v124, v129
	v_add_f16_e32 v147, v147, v145
	v_fma_f16 v124, v146, 0x3b76, -v121
	v_fma_f16 v145, v146, 0xbacd, -v128
	v_mul_f16_e32 v158, 0xb964, v99
	v_fma_f16 v151, v146, 0x2de8, -v144
	v_mul_f16_sdwa v163, v99, v30 dst_sel:DWORD dst_unused:UNUSED_PAD src0_sel:WORD_1 src1_sel:DWORD
	v_add_f16_e32 v30, v124, v31
	v_add_f16_e32 v31, v145, v38
	v_fma_f16 v38, v146, 0x39e9, -v158
	v_mul_f16_e32 v164, 0xb1e1, v99
	v_pk_mul_f16 v166, 0x3b29, v99 op_sel_hi:[0,1]
	v_add_f16_e32 v33, v151, v33
	v_lshrrev_b32_e32 v151, 16, v69
	v_add_f16_e32 v38, v38, v115
	v_fma_f16 v145, v146, 0xbbdd, -v164
	v_pk_fma_f16 v154, 0x3722, v65, v166 op_sel:[0,0,1] op_sel_hi:[0,1,0] neg_lo:[0,0,1] neg_hi:[0,0,1]
	v_mul_f16_e32 v115, 0x3b29, v77
	v_fmamk_f16 v124, v65, 0xbbdd, v163
	v_mul_f16_e32 v99, 0xb836, v77
	v_add_f16_e32 v134, v145, v134
	v_pk_add_f16 v168, v154, v136
	v_fma_f16 v154, v151, 0x3722, -v115
	v_mul_f16_e32 v136, 0x3a62, v77
	v_mul_f16_e32 v145, 0xb5c8, v77
	v_mul_f16_sdwa v165, v77, v117 dst_sel:DWORD dst_unused:UNUSED_PAD src0_sel:WORD_1 src1_sel:DWORD
	v_mul_f16_e32 v167, 0x3964, v77
	v_add_f16_e32 v169, v154, v147
	v_fma_f16 v147, v151, 0xb8d2, -v136
	v_fma_f16 v154, v151, 0x3b76, -v145
	v_pk_fma_f16 v32, 0xbbdd, v59, v32 op_sel:[0,0,1] op_sel_hi:[0,1,0]
	v_add_f16_e32 v123, v124, v123
	v_fma_f16 v157, v151, 0xbacd, -v99
	v_mul_f16_e32 v124, 0xbbf7, v77
	v_mul_f16_e32 v161, 0xb1e1, v77
	v_add_f16_e32 v170, v147, v31
	v_add_f16_e32 v171, v154, v33
	v_fmamk_f16 v31, v69, 0x39e9, v165
	v_fma_f16 v33, v151, 0x39e9, -v167
	v_pk_mul_f16 v77, 0xbbb2, v77 op_sel_hi:[0,1]
	v_lshrrev_b32_e32 v154, 16, v72
	v_mul_f16_e32 v117, 0xb1e1, v126
	v_pk_add_f16 v32, v32, v2
	v_pk_fma_f16 v37, 0x3b76, v58, v37 op_sel:[0,0,1] op_sel_hi:[0,1,0]
	v_add_f16_e32 v129, v157, v129
	v_add_f16_e32 v172, v31, v123
	v_pk_fma_f16 v31, 0xb461, v69, v77 op_sel:[0,0,1] op_sel_hi:[0,1,0] neg_lo:[0,0,1] neg_hi:[0,0,1]
	v_add_f16_e32 v173, v33, v134
	v_fma_f16 v33, v154, 0xbbdd, -v117
	v_pk_add_f16 v32, v37, v32
	v_pk_fma_f16 v35, 0xbacd, v56, v35 op_sel:[0,0,1] op_sel_hi:[0,1,0]
	v_fma_f16 v157, v151, 0x2de8, -v124
	v_pk_add_f16 v174, v31, v168
	v_mul_f16_e32 v134, 0xb836, v126
	v_add_f16_e32 v31, v33, v129
	v_pk_add_f16 v32, v35, v32
	v_pk_fma_f16 v33, 0x39e9, v55, v34 op_sel:[0,0,1] op_sel_hi:[0,1,0]
	v_add_f16_e32 v30, v157, v30
	v_fma_f16 v157, v151, 0xbbdd, -v161
	v_mul_f16_e32 v123, 0x35c8, v126
	v_fma_f16 v35, v154, 0xbacd, -v134
	v_pk_add_f16 v37, v33, v32
	v_pk_fma_f16 v25, 0xb8d2, v57, v25 op_sel:[0,0,1] op_sel_hi:[0,1,0]
	v_add_f16_e32 v38, v157, v38
	v_fma_f16 v34, v154, 0x3b76, -v123
	v_mul_f16_e32 v157, 0xba62, v126
	v_add_f16_e32 v33, v35, v30
	v_pk_add_f16 v25, v25, v37
	v_pk_fma_f16 v30, 0x3722, v65, v166 op_sel:[0,0,1] op_sel_hi:[0,1,0]
	s_clause 0x1
	s_load_dwordx2 s[6:7], s[4:5], 0x20
	s_load_dwordx2 s[2:3], s[4:5], 0x8
	v_mul_f16_e32 v147, 0x3964, v126
	v_add_f16_e32 v32, v34, v169
	v_fma_f16 v129, v154, 0xb8d2, -v157
	v_mul_f16_e32 v166, 0x3b29, v126
	v_mul_f16_e32 v168, 0xbbb2, v126
	v_pk_add_f16 v25, v30, v25
	v_pk_fma_f16 v30, 0xb461, v69, v77 op_sel:[0,0,1] op_sel_hi:[0,1,0]
	v_pk_mul_f16 v37, 0x3bf7, v126 op_sel_hi:[0,1]
	v_mul_f16_sdwa v169, v126, v16 dst_sel:DWORD dst_unused:UNUSED_PAD src0_sel:WORD_1 src1_sel:DWORD
	v_fma_f16 v34, v154, 0x39e9, -v147
	v_add_f16_e32 v35, v129, v171
	v_fma_f16 v16, v154, 0x3722, -v166
	v_fma_f16 v77, v154, 0xb461, -v168
	v_pk_add_f16 v25, v30, v25
	v_pk_fma_f16 v30, 0x2de8, v72, v37 op_sel:[0,0,1] op_sel_hi:[0,1,0] neg_lo:[0,0,1] neg_hi:[0,0,1]
	v_fmamk_f16 v126, v72, 0xb461, v169
	v_pk_fma_f16 v129, 0x2de8, v72, v37 op_sel:[0,0,1] op_sel_hi:[0,1,0]
	v_add_f16_e32 v34, v34, v170
	v_add_f16_e32 v37, v16, v38
	;; [unrolled: 1-line block ×3, first 2 shown]
	v_pk_add_f16 v77, v30, v174
	v_add_f16_e32 v16, v126, v172
	v_pk_add_f16 v25, v129, v25
	v_mul_lo_u16 v30, v28, 17
	s_waitcnt lgkmcnt(0)
	s_barrier
	buffer_gl0_inv
	s_and_saveexec_b32 s0, vcc_lo
	s_cbranch_execz .LBB0_7
; %bb.6:
	v_mul_f16_e32 v181, 0xbacd, v132
	v_mul_f16_e32 v180, 0xbacd, v59
	;; [unrolled: 1-line block ×5, first 2 shown]
	v_add_f16_e32 v149, v149, v181
	v_mul_f16_e32 v181, 0x3722, v135
	v_mul_f16_e32 v174, 0x2de8, v59
	;; [unrolled: 1-line block ×4, first 2 shown]
	v_add_f16_sdwa v149, v149, v2 dst_sel:DWORD dst_unused:UNUSED_PAD src0_sel:DWORD src1_sel:WORD_1
	v_add_f16_e32 v150, v150, v181
	v_mul_f16_e32 v181, 0x2de8, v139
	v_mul_f16_e32 v59, 0x39e9, v58
	;; [unrolled: 1-line block ×4, first 2 shown]
	v_add_f16_e32 v149, v150, v149
	v_add_f16_e32 v150, v156, v181
	v_mul_f16_e32 v181, 0xb8d2, v142
	v_mul_f16_e32 v186, 0xbbdd, v58
	;; [unrolled: 1-line block ×5, first 2 shown]
	v_add_f16_e32 v149, v150, v149
	v_sub_f16_e32 v140, v180, v140
	v_add_f16_e32 v159, v159, v181
	v_mul_f16_e32 v181, 0x3b76, v143
	v_sub_f16_e32 v58, v58, v141
	v_mul_f16_e32 v179, 0xb8d2, v132
	v_add_f16_e32 v140, v140, v2
	v_add_f16_e32 v149, v159, v149
	v_mul_f16_e32 v159, 0x2de8, v56
	v_add_f16_e32 v162, v162, v181
	v_mul_f16_e32 v129, 0x3b76, v132
	;; [unrolled: 2-line block ×3, first 2 shown]
	v_sub_f16_e32 v152, v159, v152
	v_add_f16_e32 v149, v162, v149
	v_mul_f16_e32 v162, 0xb8d2, v55
	v_mul_f16_e32 v171, 0x39e9, v132
	v_add_f16_e32 v140, v164, v140
	v_add_f16_e32 v58, v152, v58
	v_mul_f16_e32 v152, 0x39e9, v151
	v_sub_f16_e32 v155, v162, v155
	v_mul_f16_e32 v173, 0x3722, v132
	v_add_f16_e32 v140, v140, v149
	v_mul_f16_e32 v149, 0x3b76, v57
	v_add_f16_e32 v152, v167, v152
	v_add_f16_e32 v58, v155, v58
	v_mul_f16_e32 v175, 0x2de8, v132
	v_mul_f16_e32 v177, 0xb461, v132
	v_sub_f16_e32 v149, v149, v160
	v_add_f16_e32 v140, v152, v140
	v_mul_f16_e32 v152, 0xbbdd, v65
	v_mul_f16_e32 v132, 0x39e9, v135
	;; [unrolled: 1-line block ×7, first 2 shown]
	v_add_f16_e32 v58, v149, v58
	v_add_f16_e32 v131, v131, v179
	v_sub_f16_e32 v152, v152, v163
	v_mul_f16_e32 v163, 0x39e9, v69
	v_mul_f16_e32 v150, 0x3722, v139
	;; [unrolled: 1-line block ×7, first 2 shown]
	v_add_f16_e32 v133, v133, v135
	v_add_f16_sdwa v131, v131, v2 dst_sel:DWORD dst_unused:UNUSED_PAD src0_sel:DWORD src1_sel:WORD_1
	v_add_f16_e32 v58, v152, v58
	v_sub_f16_e32 v163, v163, v165
	v_mul_f16_e32 v165, 0xb461, v154
	v_add_f16_e32 v138, v138, v139
	v_add_f16_e32 v131, v133, v131
	v_sub_f16_e32 v108, v178, v108
	v_add_f16_e32 v58, v163, v58
	v_add_f16_e32 v165, v168, v165
	v_mul_f16_e32 v168, 0xbacd, v142
	v_mul_f16_e32 v163, 0xb461, v72
	v_add_f16_e32 v131, v138, v131
	v_mul_f16_e32 v156, 0x3722, v56
	v_mul_f16_e32 v180, 0xb8d2, v56
	v_add_f16_e32 v148, v148, v168
	v_sub_f16_e32 v163, v163, v169
	v_mul_f16_e32 v169, 0x2de8, v143
	v_mul_f16_e32 v181, 0xbbdd, v56
	;; [unrolled: 1-line block ×5, first 2 shown]
	v_add_f16_e32 v131, v148, v131
	v_add_f16_e32 v153, v153, v169
	;; [unrolled: 1-line block ×3, first 2 shown]
	v_mul_f16_e32 v163, 0x39e9, v146
	v_sub_f16_e32 v110, v190, v110
	v_add_f16_e32 v108, v108, v2
	v_sub_f16_e32 v90, v176, v90
	v_mul_f16_e32 v160, 0x2de8, v55
	v_mul_f16_e32 v179, 0xbbdd, v55
	;; [unrolled: 1-line block ×6, first 2 shown]
	v_add_f16_e32 v131, v153, v131
	v_add_f16_e32 v158, v158, v163
	v_mul_f16_e32 v163, 0xbbdd, v151
	v_add_f16_e32 v108, v110, v108
	v_sub_f16_e32 v56, v56, v112
	v_add_f16_e32 v119, v119, v177
	v_sub_f16_e32 v92, v188, v92
	v_add_f16_e32 v90, v90, v2
	v_add_f16_e32 v107, v107, v175
	v_mul_f16_e32 v148, 0xb461, v57
	v_add_f16_e32 v140, v165, v140
	v_mul_f16_e32 v165, 0xbacd, v57
	v_mul_f16_e32 v178, 0x39e9, v57
	v_add_f16_e32 v131, v158, v131
	v_mul_f16_e32 v158, 0x3722, v57
	v_add_f16_e32 v161, v161, v163
	v_mul_f16_e32 v110, 0xbbdd, v57
	v_mul_f16_e32 v57, 0x2de8, v57
	v_add_f16_e32 v56, v56, v108
	v_sub_f16_e32 v55, v55, v102
	v_add_f16_e32 v120, v120, v189
	v_add_f16_sdwa v119, v119, v2 dst_sel:DWORD dst_unused:UNUSED_PAD src0_sel:DWORD src1_sel:WORD_1
	v_add_f16_e32 v90, v92, v90
	v_sub_f16_e32 v87, v167, v87
	v_add_f16_sdwa v92, v107, v2 dst_sel:DWORD dst_unused:UNUSED_PAD src0_sel:DWORD src1_sel:WORD_1
	v_add_f16_e32 v107, v111, v187
	v_mul_f16_e32 v149, 0x2de8, v142
	v_mul_f16_e32 v135, 0xbbdd, v142
	;; [unrolled: 1-line block ×5, first 2 shown]
	v_add_f16_e32 v131, v161, v131
	v_mul_f16_e32 v161, 0xb8d2, v65
	v_mul_f16_e32 v108, 0xb461, v65
	;; [unrolled: 1-line block ×3, first 2 shown]
	v_add_f16_e32 v55, v55, v56
	v_mul_f16_e32 v56, 0xbacd, v65
	v_sub_f16_e32 v57, v57, v104
	v_add_f16_e32 v119, v120, v119
	v_mul_f16_e32 v120, 0x2de8, v65
	v_mul_f16_e32 v65, 0x39e9, v65
	v_add_f16_e32 v127, v127, v155
	v_add_f16_e32 v87, v87, v90
	v_sub_f16_e32 v89, v168, v89
	v_add_f16_e32 v90, v107, v92
	v_add_f16_e32 v92, v118, v162
	v_sub_f16_e32 v73, v174, v73
	v_mul_f16_e32 v163, 0x3722, v143
	v_mul_f16_e32 v112, 0x3722, v154
	v_add_f16_e32 v55, v57, v55
	v_sub_f16_e32 v65, v65, v105
	v_add_f16_e32 v119, v127, v119
	v_mul_f16_e32 v127, 0xbbdd, v69
	v_add_f16_e32 v130, v130, v142
	v_add_f16_e32 v87, v89, v87
	v_sub_f16_e32 v86, v110, v86
	v_add_f16_e32 v89, v92, v90
	v_add_f16_e32 v90, v122, v138
	;; [unrolled: 1-line block ×3, first 2 shown]
	v_sub_f16_e32 v74, v186, v74
	v_pk_add_f16 v3, v3, v2
	v_mul_f16_e32 v169, 0xb461, v143
	v_mul_f16_e32 v153, 0xbacd, v143
	;; [unrolled: 1-line block ×4, first 2 shown]
	v_add_f16_e32 v112, v166, v112
	v_mul_f16_e32 v166, 0xb8d2, v146
	v_mul_f16_e32 v177, 0xb461, v146
	;; [unrolled: 1-line block ×7, first 2 shown]
	v_add_f16_e32 v55, v65, v55
	v_mul_f16_e32 v65, 0x2de8, v69
	v_sub_f16_e32 v106, v127, v106
	v_add_f16_e32 v119, v130, v119
	v_mul_f16_e32 v130, 0xb8d2, v69
	v_mul_f16_e32 v69, 0x3b76, v69
	v_add_f16_e32 v86, v86, v87
	v_sub_f16_e32 v87, v120, v88
	v_add_f16_e32 v88, v90, v89
	v_add_f16_e32 v89, v125, v163
	;; [unrolled: 1-line block ×3, first 2 shown]
	v_sub_f16_e32 v74, v164, v76
	v_pk_add_f16 v3, v23, v3
	v_add_f16_e32 v137, v137, v143
	v_mul_f16_e32 v143, 0xb8d2, v151
	v_add_f16_e32 v112, v112, v131
	v_mul_f16_e32 v131, 0xbbdd, v72
	;; [unrolled: 2-line block ×4, first 2 shown]
	v_mul_f16_e32 v176, 0xbacd, v72
	v_mul_f16_e32 v188, 0x39e9, v72
	;; [unrolled: 1-line block ×3, first 2 shown]
	v_add_f16_e32 v76, v87, v86
	v_sub_f16_e32 v69, v69, v91
	v_add_f16_e32 v86, v89, v88
	v_add_f16_e32 v87, v128, v104
	;; [unrolled: 1-line block ×3, first 2 shown]
	v_sub_f16_e32 v74, v139, v79
	v_pk_add_f16 v3, v24, v3
	v_add_f16_e32 v69, v69, v76
	v_sub_f16_e32 v72, v72, v93
	v_add_f16_e32 v76, v87, v86
	v_add_f16_e32 v79, v136, v143
	;; [unrolled: 1-line block ×3, first 2 shown]
	v_sub_f16_e32 v74, v158, v80
	v_add_f16_e32 v86, v95, v173
	v_sub_f16_e32 v43, v170, v43
	v_pk_add_f16 v3, v19, v3
	v_add_f16_e32 v69, v72, v69
	v_add_f16_e32 v72, v79, v76
	;; [unrolled: 1-line block ×3, first 2 shown]
	v_sub_f16_e32 v56, v56, v78
	v_add_f16_sdwa v74, v86, v2 dst_sel:DWORD dst_unused:UNUSED_PAD src0_sel:DWORD src1_sel:WORD_1
	v_add_f16_e32 v76, v96, v185
	v_sub_f16_e32 v61, v172, v61
	v_add_f16_e32 v43, v43, v2
	v_sub_f16_e32 v23, v182, v40
	v_pk_add_f16 v3, v20, v3
	v_add_f16_e32 v56, v56, v73
	v_sub_f16_e32 v73, v130, v75
	v_add_f16_e32 v74, v76, v74
	v_add_f16_e32 v75, v101, v159
	;; [unrolled: 1-line block ×3, first 2 shown]
	v_sub_f16_e32 v63, v184, v63
	v_add_f16_e32 v23, v23, v43
	v_sub_f16_e32 v24, v180, v44
	v_pk_add_f16 v3, v21, v3
	v_add_f16_e32 v56, v73, v56
	v_add_f16_e32 v73, v75, v74
	v_add_f16_e32 v61, v63, v61
	v_sub_f16_e32 v63, v181, v66
	v_add_f16_e32 v75, v83, v171
	v_add_f16_e32 v23, v24, v23
	v_sub_f16_e32 v24, v179, v47
	v_add_f16_e32 v44, v70, v129
	v_sub_f16_e32 v36, v126, v36
	v_pk_add_f16 v3, v22, v3
	v_add_f16_e32 v61, v63, v61
	v_add_f16_sdwa v63, v75, v2 dst_sel:DWORD dst_unused:UNUSED_PAD src0_sel:DWORD src1_sel:WORD_1
	v_add_f16_e32 v23, v24, v23
	v_add_f16_sdwa v24, v44, v2 dst_sel:DWORD dst_unused:UNUSED_PAD src0_sel:DWORD src1_sel:WORD_1
	v_add_f16_e32 v21, v71, v132
	v_add_f16_e32 v2, v36, v2
	v_sub_f16_e32 v36, v59, v39
	v_pk_add_f16 v3, v17, v3
	v_sub_f16_e32 v62, v152, v62
	v_add_f16_e32 v75, v84, v183
	v_add_f16_e32 v21, v21, v24
	;; [unrolled: 1-line block ×4, first 2 shown]
	v_sub_f16_e32 v24, v156, v42
	v_pk_add_f16 v3, v18, v3
	v_add_f16_e32 v61, v62, v61
	v_sub_f16_e32 v62, v178, v64
	v_add_f16_e32 v63, v75, v63
	v_add_f16_e32 v64, v97, v141
	;; [unrolled: 1-line block ×5, first 2 shown]
	v_sub_f16_e32 v18, v160, v46
	v_pk_add_f16 v3, v6, v3
	v_add_f16_e32 v74, v113, v133
	v_add_f16_e32 v61, v62, v61
	v_sub_f16_e32 v62, v102, v67
	v_add_f16_e32 v63, v64, v63
	v_add_f16_e32 v64, v100, v135
	v_add_f16_e32 v21, v22, v21
	v_add_f16_e32 v22, v94, v169
	v_add_f16_e32 v2, v18, v2
	v_sub_f16_e32 v6, v148, v45
	v_pk_add_f16 v3, v7, v3
	v_add_f16_e32 v73, v74, v73
	v_add_f16_e32 v74, v116, v190
	;; [unrolled: 1-line block ×3, first 2 shown]
	v_sub_f16_e32 v62, v65, v68
	v_add_f16_e32 v63, v64, v63
	v_add_f16_e32 v64, v114, v153
	v_sub_f16_e32 v39, v165, v49
	v_mul_f16_e32 v57, 0xbacd, v151
	v_add_f16_e32 v18, v22, v21
	v_add_f16_e32 v7, v98, v166
	v_add_f16_e32 v2, v6, v2
	v_sub_f16_e32 v6, v161, v48
	v_pk_add_f16 v3, v4, v3
	v_mul_f16_e32 v142, 0x3722, v151
	v_mul_f16_e32 v127, 0x2de8, v151
	v_add_f16_e32 v119, v137, v119
	v_add_f16_e32 v73, v74, v73
	;; [unrolled: 1-line block ×7, first 2 shown]
	v_sub_f16_e32 v23, v108, v50
	v_mul_f16_e32 v151, 0x3b76, v151
	v_mul_f16_e32 v137, 0xbbdd, v154
	v_add_f16_e32 v4, v7, v18
	v_add_f16_e32 v7, v99, v57
	;; [unrolled: 1-line block ×3, first 2 shown]
	v_sub_f16_e32 v6, v155, v51
	v_pk_add_f16 v3, v5, v3
	v_sub_f16_e32 v103, v106, v103
	v_mul_f16_e32 v106, 0x3b76, v154
	v_add_f16_e32 v119, v144, v119
	v_mul_f16_e32 v144, 0xbacd, v154
	v_sub_f16_e32 v66, v188, v82
	v_add_f16_e32 v73, v74, v73
	v_add_f16_e32 v74, v124, v127
	v_sub_f16_e32 v40, v176, v60
	v_add_f16_e32 v60, v63, v62
	v_add_f16_e32 v62, v115, v142
	;; [unrolled: 1-line block ×3, first 2 shown]
	v_sub_f16_e32 v21, v105, v53
	v_mul_f16_e32 v175, 0x39e9, v154
	v_mul_f16_e32 v154, 0xb8d2, v154
	v_add_f16_e32 v145, v145, v151
	v_add_f16_e32 v4, v7, v4
	;; [unrolled: 1-line block ×4, first 2 shown]
	v_pk_add_f16 v0, v0, v3
	v_sub_f16_e32 v3, v131, v52
	v_add_f16_e32 v56, v66, v56
	v_add_f16_e32 v66, v74, v73
	;; [unrolled: 1-line block ×6, first 2 shown]
	v_sub_f16_e32 v6, v146, v54
	v_add_f16_e32 v55, v103, v55
	v_add_f16_e32 v103, v145, v119
	;; [unrolled: 1-line block ×5, first 2 shown]
	v_and_b32_e32 v7, 0xffff, v30
	v_pk_add_f16 v0, v1, v0
	v_add_f16_e32 v1, v3, v2
	v_add_f16_e32 v43, v65, v66
	;; [unrolled: 1-line block ×7, first 2 shown]
	v_add_lshl_u32 v5, v41, v7, 2
	v_pk_add_f16 v0, v15, v0
	v_pack_b32_f16 v1, v1, v4
	v_pack_b32_f16 v4, v40, v43
	v_pack_b32_f16 v2, v3, v2
	v_pack_b32_f16 v3, v69, v80
	v_pack_b32_f16 v6, v56, v72
	v_pack_b32_f16 v7, v58, v140
	v_pack_b32_f16 v15, v55, v112
	ds_write2_b32 v5, v0, v1 offset1:1
	ds_write2_b32 v5, v2, v4 offset0:2 offset1:3
	ds_write2_b32 v5, v6, v3 offset0:4 offset1:5
	;; [unrolled: 1-line block ×3, first 2 shown]
	v_bfi_b32 v0, 0xffff, v25, v77
	v_bfi_b32 v1, 0xffff, v77, v25
	v_perm_b32 v2, v37, v13, 0x5040100
	v_perm_b32 v3, v38, v16, 0x5040100
	;; [unrolled: 1-line block ×7, first 2 shown]
	ds_write2_b32 v5, v1, v0 offset0:8 offset1:9
	ds_write2_b32 v5, v3, v2 offset0:10 offset1:11
	;; [unrolled: 1-line block ×4, first 2 shown]
	ds_write_b32 v5, v17 offset:64
.LBB0_7:
	s_or_b32 exec_lo, exec_lo, s0
	v_add_lshl_u32 v36, v41, v28, 2
	s_waitcnt lgkmcnt(0)
	s_barrier
	buffer_gl0_inv
	v_cmp_gt_u16_e64 s0, 17, v28
	ds_read2_b32 v[0:1], v36 offset1:34
	ds_read2_b32 v[6:7], v36 offset0:153 offset1:187
	ds_read2_b32 v[2:3], v36 offset0:68 offset1:102
	ds_read2_b32 v[4:5], v36 offset0:221 offset1:255
	v_lshrrev_b32_e32 v17, 16, v25
	s_and_saveexec_b32 s1, s0
	s_cbranch_execz .LBB0_9
; %bb.8:
	v_add_nc_u32_e32 v15, 0x200, v36
	ds_read2_b32 v[24:25], v15 offset0:8 offset1:161
	s_waitcnt lgkmcnt(0)
	v_lshrrev_b32_e32 v17, 16, v24
	v_bfi_b32 v77, 0xffff, v24, v25
.LBB0_9:
	s_or_b32 exec_lo, exec_lo, s1
	v_add_nc_u16 v15, v28, 34
	v_add_co_u32 v20, s1, 0xffffffef, v28
	v_add_co_ci_u32_e64 v19, null, 0, -1, s1
	v_and_b32_e32 v18, 0xff, v15
	v_add_nc_u16 v21, v28, 0x44
	v_add_nc_u16 v22, v28, 0x66
	;; [unrolled: 1-line block ×3, first 2 shown]
	v_cndmask_b32_e64 v19, v19, 0, s0
	v_mul_lo_u16 v39, 0xf1, v18
	v_cndmask_b32_e64 v18, v20, v28, s0
	v_and_b32_e32 v24, 0xff, v21
	v_and_b32_e32 v40, 0xff, v22
	v_mov_b32_e32 v49, 34
	v_lshrrev_b16 v46, 12, v39
	v_and_b32_e32 v39, 0xff, v23
	v_lshlrev_b64 v[19:20], 2, v[18:19]
	v_mul_lo_u16 v24, 0xf1, v24
	v_mul_lo_u16 v40, 0xf1, v40
	;; [unrolled: 1-line block ×4, first 2 shown]
	s_waitcnt lgkmcnt(2)
	v_lshrrev_b32_e32 v50, 16, v7
	v_add_co_u32 v19, s1, s2, v19
	v_lshrrev_b16 v24, 12, v24
	v_add_co_ci_u32_e64 v20, s1, s3, v20, s1
	v_lshrrev_b16 v47, 12, v40
	v_lshrrev_b16 v39, 12, v39
	v_mul_lo_u16 v40, v24, 17
	global_load_dword v43, v[19:20], off
	v_sub_nc_u16 v15, v15, v42
	v_mul_lo_u16 v19, v47, 17
	v_mul_lo_u16 v39, v39, 17
	v_mov_b32_e32 v20, 2
	v_sub_nc_u16 v21, v21, v40
	v_cmp_lt_u16_e64 s1, 16, v28
	v_sub_nc_u16 v19, v22, v19
	v_sub_nc_u16 v23, v23, v39
	v_lshlrev_b32_sdwa v22, v20, v15 dst_sel:DWORD dst_unused:UNUSED_PAD src0_sel:DWORD src1_sel:BYTE_0
	v_lshlrev_b32_sdwa v40, v20, v21 dst_sel:DWORD dst_unused:UNUSED_PAD src0_sel:DWORD src1_sel:BYTE_0
	s_clause 0x1
	global_load_dword v45, v22, s[2:3]
	global_load_dword v44, v40, s[2:3]
	v_lshlrev_b32_sdwa v20, v20, v19 dst_sel:DWORD dst_unused:UNUSED_PAD src0_sel:DWORD src1_sel:BYTE_0
	v_and_b32_e32 v39, 0xff, v23
	v_cndmask_b32_e64 v48, 0, 34, s1
	v_lshrrev_b32_e32 v22, 16, v6
	v_mul_u32_u24_sdwa v24, v24, v49 dst_sel:DWORD dst_unused:UNUSED_PAD src0_sel:WORD_0 src1_sel:DWORD
	global_load_dword v42, v20, s[2:3]
	v_lshlrev_b32_e32 v20, 2, v39
	v_add_nc_u32_e32 v18, v18, v48
	v_mul_u32_u24_sdwa v47, v47, v49 dst_sel:DWORD dst_unused:UNUSED_PAD src0_sel:WORD_0 src1_sel:DWORD
	v_mad_u16 v15, v46, 34, v15
	s_waitcnt lgkmcnt(0)
	v_lshrrev_b32_e32 v52, 16, v4
	global_load_dword v40, v20, s[2:3]
	v_add_lshl_u32 v46, v41, v18, 2
	v_add_nc_u32_sdwa v18, v24, v21 dst_sel:DWORD dst_unused:UNUSED_PAD src0_sel:DWORD src1_sel:BYTE_0
	v_add_nc_u32_sdwa v19, v47, v19 dst_sel:DWORD dst_unused:UNUSED_PAD src0_sel:DWORD src1_sel:BYTE_0
	v_lshrrev_b32_e32 v20, 16, v0
	v_and_b32_e32 v15, 0xff, v15
	v_lshrrev_b32_e32 v54, 16, v5
	v_add_lshl_u32 v47, v41, v18, 2
	v_add_lshl_u32 v48, v41, v19, 2
	s_load_dwordx4 s[4:7], s[6:7], 0x0
	v_add_lshl_u32 v49, v41, v15, 2
	v_lshrrev_b32_e32 v55, 16, v77
	v_lshrrev_b32_e32 v23, 16, v1
	;; [unrolled: 1-line block ×4, first 2 shown]
	s_waitcnt vmcnt(0) lgkmcnt(0)
	s_barrier
	buffer_gl0_inv
	v_mul_f16_sdwa v21, v22, v43 dst_sel:DWORD dst_unused:UNUSED_PAD src0_sel:DWORD src1_sel:WORD_1
	v_mul_f16_sdwa v24, v6, v43 dst_sel:DWORD dst_unused:UNUSED_PAD src0_sel:DWORD src1_sel:WORD_1
	v_fma_f16 v6, v6, v43, -v21
	v_fmac_f16_e32 v24, v22, v43
	v_sub_f16_e32 v6, v0, v6
	v_sub_f16_e32 v15, v20, v24
	v_mul_f16_sdwa v18, v50, v45 dst_sel:DWORD dst_unused:UNUSED_PAD src0_sel:DWORD src1_sel:WORD_1
	v_mul_f16_sdwa v19, v7, v45 dst_sel:DWORD dst_unused:UNUSED_PAD src0_sel:DWORD src1_sel:WORD_1
	;; [unrolled: 1-line block ×4, first 2 shown]
	v_fma_f16 v0, v0, 2.0, -v6
	v_fma_f16 v7, v7, v45, -v18
	v_fmac_f16_e32 v19, v50, v45
	v_mul_f16_sdwa v24, v54, v42 dst_sel:DWORD dst_unused:UNUSED_PAD src0_sel:DWORD src1_sel:WORD_1
	v_mul_f16_sdwa v56, v5, v42 dst_sel:DWORD dst_unused:UNUSED_PAD src0_sel:DWORD src1_sel:WORD_1
	v_fma_f16 v20, v20, 2.0, -v15
	v_fma_f16 v4, v4, v44, -v21
	v_fmac_f16_e32 v22, v52, v44
	v_fma_f16 v5, v5, v42, -v24
	v_fmac_f16_e32 v56, v54, v42
	v_pack_b32_f16 v6, v6, v15
	v_mul_f16_sdwa v15, v55, v40 dst_sel:DWORD dst_unused:UNUSED_PAD src0_sel:DWORD src1_sel:WORD_1
	v_mul_f16_sdwa v18, v25, v40 dst_sel:DWORD dst_unused:UNUSED_PAD src0_sel:DWORD src1_sel:WORD_1
	v_sub_f16_e32 v7, v1, v7
	v_sub_f16_e32 v19, v23, v19
	v_pack_b32_f16 v0, v0, v20
	v_sub_f16_e32 v4, v2, v4
	v_sub_f16_e32 v20, v51, v22
	;; [unrolled: 1-line block ×4, first 2 shown]
	v_fma_f16 v15, v25, v40, -v15
	v_fmac_f16_e32 v18, v55, v40
	v_fma_f16 v1, v1, 2.0, -v7
	v_fma_f16 v22, v23, 2.0, -v19
	;; [unrolled: 1-line block ×6, first 2 shown]
	v_sub_f16_e32 v15, v77, v15
	v_sub_f16_e32 v51, v17, v18
	v_pack_b32_f16 v7, v7, v19
	v_pack_b32_f16 v1, v1, v22
	;; [unrolled: 1-line block ×6, first 2 shown]
	ds_write2_b32 v46, v0, v6 offset1:17
	ds_write2_b32 v49, v1, v7 offset1:17
	;; [unrolled: 1-line block ×4, first 2 shown]
	s_and_saveexec_b32 s1, s0
	s_cbranch_execz .LBB0_11
; %bb.10:
	v_fma_f16 v0, v77, 2.0, -v15
	v_fma_f16 v1, v17, 2.0, -v51
	v_add_lshl_u32 v2, v41, v39, 2
	v_perm_b32 v3, v51, v15, 0x5040100
	v_pack_b32_f16 v0, v0, v1
	v_add_nc_u32_e32 v1, 0x400, v2
	ds_write2_b32 v1, v0, v3 offset0:16 offset1:33
.LBB0_11:
	s_or_b32 exec_lo, exec_lo, s1
	v_lshlrev_b32_e32 v0, 5, v28
	s_waitcnt lgkmcnt(0)
	s_barrier
	buffer_gl0_inv
	v_lshl_add_u32 v25, v28, 2, v29
	s_clause 0x1
	global_load_dwordx4 v[4:7], v0, s[2:3] offset:68
	global_load_dwordx4 v[0:3], v0, s[2:3] offset:84
	ds_read2_b32 v[18:19], v36 offset1:34
	ds_read2_b32 v[20:21], v36 offset0:68 offset1:102
	ds_read2_b32 v[22:23], v36 offset0:136 offset1:170
	;; [unrolled: 1-line block ×3, first 2 shown]
	ds_read_b32 v17, v36 offset:1088
	v_add_nc_u32_e32 v60, 0x200, v25
	s_waitcnt lgkmcnt(4)
	v_lshrrev_b32_e32 v24, 16, v19
	s_waitcnt lgkmcnt(3)
	v_lshrrev_b32_e32 v41, 16, v20
	;; [unrolled: 2-line block ×3, first 2 shown]
	v_lshrrev_b32_e32 v55, 16, v23
	s_waitcnt lgkmcnt(1)
	v_lshrrev_b32_e32 v58, 16, v53
	s_waitcnt lgkmcnt(0)
	v_lshrrev_b32_e32 v59, 16, v17
	v_lshrrev_b32_e32 v50, 16, v21
	;; [unrolled: 1-line block ×4, first 2 shown]
	s_waitcnt vmcnt(1)
	v_mul_f16_sdwa v61, v24, v4 dst_sel:DWORD dst_unused:UNUSED_PAD src0_sel:DWORD src1_sel:WORD_1
	v_mul_f16_sdwa v62, v19, v4 dst_sel:DWORD dst_unused:UNUSED_PAD src0_sel:DWORD src1_sel:WORD_1
	;; [unrolled: 1-line block ×5, first 2 shown]
	s_waitcnt vmcnt(0)
	v_mul_f16_sdwa v69, v55, v0 dst_sel:DWORD dst_unused:UNUSED_PAD src0_sel:DWORD src1_sel:WORD_1
	v_mul_f16_sdwa v73, v58, v2 dst_sel:DWORD dst_unused:UNUSED_PAD src0_sel:DWORD src1_sel:WORD_1
	;; [unrolled: 1-line block ×11, first 2 shown]
	v_fma_f16 v19, v19, v4, -v61
	v_fmac_f16_e32 v62, v24, v4
	v_fma_f16 v20, v20, v5, -v63
	v_fmac_f16_e32 v64, v41, v5
	v_fma_f16 v22, v22, v7, -v67
	v_fma_f16 v23, v23, v0, -v69
	;; [unrolled: 1-line block ×3, first 2 shown]
	v_fmac_f16_e32 v76, v59, v3
	v_fma_f16 v41, v53, v2, -v73
	v_fmac_f16_e32 v74, v58, v2
	v_fma_f16 v21, v21, v6, -v65
	v_fmac_f16_e32 v66, v50, v6
	v_fmac_f16_e32 v68, v54, v7
	;; [unrolled: 1-line block ×3, first 2 shown]
	v_fma_f16 v24, v52, v1, -v71
	v_fmac_f16_e32 v72, v56, v1
	v_add_f16_e32 v53, v19, v17
	v_add_f16_e32 v55, v62, v76
	;; [unrolled: 1-line block ×4, first 2 shown]
	v_sub_f16_e32 v19, v19, v17
	v_sub_f16_e32 v50, v22, v23
	v_add_f16_e32 v58, v21, v24
	v_add_f16_e32 v61, v66, v72
	v_sub_f16_e32 v59, v62, v76
	v_sub_f16_e32 v20, v20, v41
	;; [unrolled: 1-line block ×4, first 2 shown]
	v_add_f16_e32 v63, v22, v23
	v_add_f16_e32 v64, v68, v70
	v_mul_f16_e32 v65, 0x3924, v19
	v_mul_f16_e32 v71, 0xb924, v50
	v_add_f16_e32 v77, v54, v53
	v_add_f16_e32 v78, v56, v55
	v_mul_f16_e32 v79, 0x3be1, v50
	v_sub_f16_e32 v21, v21, v24
	v_sub_f16_e32 v24, v66, v72
	v_mul_f16_e32 v72, 0xb924, v62
	v_fmac_f16_e32 v65, 0x3be1, v20
	v_fmac_f16_e32 v71, 0x3be1, v19
	v_add_f16_e32 v81, v63, v77
	v_add_f16_e32 v82, v64, v78
	v_fma_f16 v79, v20, 0xb924, -v79
	v_add_f16_e32 v77, v58, v77
	v_add_f16_e32 v78, v61, v78
	;; [unrolled: 1-line block ×3, first 2 shown]
	v_fmac_f16_e32 v72, 0x3be1, v59
	v_fmac_f16_e32 v65, 0x3aee, v21
	;; [unrolled: 1-line block ×4, first 2 shown]
	v_add_f16_e32 v21, v22, v77
	v_add_f16_e32 v22, v68, v78
	v_mul_f16_e32 v66, 0x3924, v59
	v_add_f16_e32 v76, v62, v59
	v_mul_f16_e32 v80, 0x3be1, v62
	v_sub_f16_e32 v75, v75, v20
	v_fmac_f16_e32 v72, 0xbaee, v24
	v_fmac_f16_e32 v71, 0x3579, v20
	v_add_f16_e32 v20, v23, v21
	v_add_f16_e32 v21, v70, v22
	v_fmamk_f16 v67, v53, 0x3a21, v18
	v_fmamk_f16 v69, v55, 0x3a21, v57
	;; [unrolled: 1-line block ×4, first 2 shown]
	v_add_f16_e32 v17, v58, v18
	v_add_f16_e32 v52, v61, v57
	v_fmac_f16_e32 v66, 0x3be1, v41
	v_sub_f16_e32 v76, v76, v41
	v_fma_f16 v80, v41, 0xb924, -v80
	v_fmac_f16_e32 v65, 0x3579, v50
	v_fmac_f16_e32 v72, 0x3579, v41
	v_add_f16_e32 v41, v20, v18
	v_add_f16_e32 v50, v21, v57
	v_fmac_f16_e32 v18, 0x3a21, v54
	v_fmac_f16_e32 v57, 0x3a21, v56
	v_fmac_f16_e32 v67, 0x318f, v54
	v_fmac_f16_e32 v69, 0x318f, v56
	v_fmac_f16_e32 v73, 0x318f, v53
	v_fmac_f16_e32 v74, 0x318f, v55
	v_fmac_f16_e32 v18, 0x318f, v63
	v_fmac_f16_e32 v57, 0x318f, v64
	v_fmac_f16_e32 v66, 0x3aee, v24
	v_fmac_f16_e32 v67, -0.5, v58
	v_fmac_f16_e32 v69, -0.5, v61
	;; [unrolled: 1-line block ×4, first 2 shown]
	v_fmac_f16_e32 v80, 0x3aee, v24
	v_fmac_f16_e32 v18, -0.5, v58
	v_fmac_f16_e32 v57, -0.5, v61
	v_fmac_f16_e32 v66, 0x3579, v62
	v_fmac_f16_e32 v67, 0xbb84, v63
	;; [unrolled: 1-line block ×5, first 2 shown]
	v_fmac_f16_e32 v17, -0.5, v81
	v_fmac_f16_e32 v52, -0.5, v82
	v_fmac_f16_e32 v79, 0x3579, v19
	v_fmac_f16_e32 v80, 0x3579, v59
	;; [unrolled: 1-line block ×4, first 2 shown]
	v_add_f16_e32 v23, v66, v67
	v_sub_f16_e32 v59, v69, v65
	v_add_f16_e32 v24, v72, v73
	v_sub_f16_e32 v56, v74, v71
	v_mul_f16_e32 v83, 0x3aee, v75
	v_mul_f16_e32 v84, 0x3aee, v76
	v_fmac_f16_e32 v17, 0x3aee, v76
	v_fmac_f16_e32 v52, 0xbaee, v75
	v_add_f16_e32 v18, v80, v18
	v_sub_f16_e32 v57, v57, v79
	v_fma_f16 v22, -2.0, v66, v23
	v_fma_f16 v53, 2.0, v65, v59
	v_fma_f16 v21, -2.0, v72, v24
	v_fma_f16 v55, 2.0, v71, v56
	;; [unrolled: 2-line block ×4, first 2 shown]
	v_pack_b32_f16 v62, v41, v50
	v_pack_b32_f16 v63, v23, v59
	;; [unrolled: 1-line block ×9, first 2 shown]
	ds_write_b32 v25, v62
	ds_write2_b32 v25, v63, v64 offset0:34 offset1:68
	ds_write2_b32 v60, v66, v67 offset0:110 offset1:144
	;; [unrolled: 1-line block ×4, first 2 shown]
	s_waitcnt lgkmcnt(0)
	s_barrier
	buffer_gl0_inv
	s_and_saveexec_b32 s1, vcc_lo
	s_cbranch_execz .LBB0_13
; %bb.12:
	global_load_dword v60, v27, s[12:13] offset:1224
	s_add_u32 s2, s12, 0x4c8
	s_addc_u32 s3, s13, 0
	s_clause 0xf
	global_load_dword v76, v27, s[2:3] offset:72
	global_load_dword v77, v27, s[2:3] offset:144
	;; [unrolled: 1-line block ×16, first 2 shown]
	ds_read_b32 v61, v25
	v_add_nc_u32_e32 v92, 0x400, v25
	s_waitcnt lgkmcnt(0)
	v_lshrrev_b32_e32 v62, 16, v61
	s_waitcnt vmcnt(16)
	v_mul_f16_sdwa v63, v62, v60 dst_sel:DWORD dst_unused:UNUSED_PAD src0_sel:DWORD src1_sel:WORD_1
	v_mul_f16_sdwa v64, v61, v60 dst_sel:DWORD dst_unused:UNUSED_PAD src0_sel:DWORD src1_sel:WORD_1
	v_fma_f16 v61, v61, v60, -v63
	v_fmac_f16_e32 v64, v62, v60
	v_pack_b32_f16 v60, v61, v64
	ds_write_b32 v25, v60
	ds_read2_b32 v[60:61], v25 offset0:18 offset1:36
	ds_read2_b32 v[62:63], v25 offset0:54 offset1:72
	ds_read2_b32 v[64:65], v25 offset0:90 offset1:108
	ds_read2_b32 v[66:67], v25 offset0:126 offset1:144
	ds_read2_b32 v[68:69], v25 offset0:162 offset1:180
	ds_read2_b32 v[70:71], v25 offset0:198 offset1:216
	ds_read2_b32 v[72:73], v25 offset0:234 offset1:252
	ds_read2_b32 v[74:75], v92 offset0:14 offset1:32
	s_waitcnt lgkmcnt(7)
	v_lshrrev_b32_e32 v93, 16, v60
	s_waitcnt vmcnt(15)
	v_mul_f16_sdwa v94, v60, v76 dst_sel:DWORD dst_unused:UNUSED_PAD src0_sel:DWORD src1_sel:WORD_1
	v_lshrrev_b32_e32 v95, 16, v61
	s_waitcnt vmcnt(14)
	v_mul_f16_sdwa v96, v61, v77 dst_sel:DWORD dst_unused:UNUSED_PAD src0_sel:DWORD src1_sel:WORD_1
	s_waitcnt lgkmcnt(6)
	v_lshrrev_b32_e32 v97, 16, v62
	s_waitcnt vmcnt(13)
	v_mul_f16_sdwa v98, v62, v78 dst_sel:DWORD dst_unused:UNUSED_PAD src0_sel:DWORD src1_sel:WORD_1
	v_lshrrev_b32_e32 v99, 16, v63
	s_waitcnt vmcnt(12)
	v_mul_f16_sdwa v100, v63, v79 dst_sel:DWORD dst_unused:UNUSED_PAD src0_sel:DWORD src1_sel:WORD_1
	;; [unrolled: 7-line block ×7, first 2 shown]
	s_waitcnt lgkmcnt(0)
	v_lshrrev_b32_e32 v121, 16, v74
	s_waitcnt vmcnt(1)
	v_mul_f16_sdwa v122, v74, v90 dst_sel:DWORD dst_unused:UNUSED_PAD src0_sel:DWORD src1_sel:WORD_1
	v_lshrrev_b32_e32 v123, 16, v75
	v_mul_f16_sdwa v125, v93, v76 dst_sel:DWORD dst_unused:UNUSED_PAD src0_sel:DWORD src1_sel:WORD_1
	v_fmac_f16_e32 v94, v93, v76
	v_mul_f16_sdwa v93, v95, v77 dst_sel:DWORD dst_unused:UNUSED_PAD src0_sel:DWORD src1_sel:WORD_1
	v_fmac_f16_e32 v96, v95, v77
	v_mul_f16_sdwa v95, v97, v78 dst_sel:DWORD dst_unused:UNUSED_PAD src0_sel:DWORD src1_sel:WORD_1
	v_fmac_f16_e32 v98, v97, v78
	v_mul_f16_sdwa v97, v99, v79 dst_sel:DWORD dst_unused:UNUSED_PAD src0_sel:DWORD src1_sel:WORD_1
	v_fmac_f16_e32 v100, v99, v79
	v_mul_f16_sdwa v99, v101, v80 dst_sel:DWORD dst_unused:UNUSED_PAD src0_sel:DWORD src1_sel:WORD_1
	v_fmac_f16_e32 v102, v101, v80
	v_mul_f16_sdwa v101, v103, v81 dst_sel:DWORD dst_unused:UNUSED_PAD src0_sel:DWORD src1_sel:WORD_1
	v_fmac_f16_e32 v104, v103, v81
	v_mul_f16_sdwa v103, v105, v82 dst_sel:DWORD dst_unused:UNUSED_PAD src0_sel:DWORD src1_sel:WORD_1
	v_fmac_f16_e32 v106, v105, v82
	v_mul_f16_sdwa v105, v107, v83 dst_sel:DWORD dst_unused:UNUSED_PAD src0_sel:DWORD src1_sel:WORD_1
	v_fmac_f16_e32 v108, v107, v83
	v_mul_f16_sdwa v107, v109, v84 dst_sel:DWORD dst_unused:UNUSED_PAD src0_sel:DWORD src1_sel:WORD_1
	v_fmac_f16_e32 v110, v109, v84
	v_mul_f16_sdwa v109, v111, v85 dst_sel:DWORD dst_unused:UNUSED_PAD src0_sel:DWORD src1_sel:WORD_1
	s_waitcnt vmcnt(0)
	v_mul_f16_sdwa v124, v75, v91 dst_sel:DWORD dst_unused:UNUSED_PAD src0_sel:DWORD src1_sel:WORD_1
	v_fmac_f16_e32 v112, v111, v85
	v_mul_f16_sdwa v111, v113, v86 dst_sel:DWORD dst_unused:UNUSED_PAD src0_sel:DWORD src1_sel:WORD_1
	v_fmac_f16_e32 v114, v113, v86
	;; [unrolled: 2-line block ×6, first 2 shown]
	v_mul_f16_sdwa v121, v123, v91 dst_sel:DWORD dst_unused:UNUSED_PAD src0_sel:DWORD src1_sel:WORD_1
	v_fma_f16 v60, v60, v76, -v125
	v_fma_f16 v61, v61, v77, -v93
	;; [unrolled: 1-line block ×10, first 2 shown]
	v_fmac_f16_e32 v124, v123, v91
	v_fma_f16 v70, v70, v86, -v111
	v_fma_f16 v71, v71, v87, -v113
	;; [unrolled: 1-line block ×6, first 2 shown]
	v_pack_b32_f16 v60, v60, v94
	v_pack_b32_f16 v61, v61, v96
	;; [unrolled: 1-line block ×16, first 2 shown]
	ds_write2_b32 v25, v60, v61 offset0:18 offset1:36
	ds_write2_b32 v25, v62, v63 offset0:54 offset1:72
	;; [unrolled: 1-line block ×8, first 2 shown]
.LBB0_13:
	s_or_b32 exec_lo, exec_lo, s1
	s_waitcnt lgkmcnt(0)
	s_barrier
	buffer_gl0_inv
	s_and_saveexec_b32 s1, vcc_lo
	s_cbranch_execz .LBB0_15
; %bb.14:
	v_add_nc_u32_e32 v9, 0x400, v25
	ds_read_b32 v41, v25
	ds_read2_b32 v[23:24], v25 offset0:18 offset1:36
	ds_read2_b32 v[17:18], v25 offset0:54 offset1:72
	;; [unrolled: 1-line block ×8, first 2 shown]
	s_waitcnt lgkmcnt(8)
	v_lshrrev_b32_e32 v50, 16, v41
	s_waitcnt lgkmcnt(7)
	v_lshrrev_b32_e32 v59, 16, v23
	v_lshrrev_b32_e32 v56, 16, v24
	s_waitcnt lgkmcnt(6)
	v_lshrrev_b32_e32 v52, 16, v17
	;; [unrolled: 3-line block ×8, first 2 shown]
	v_lshrrev_b32_e32 v31, 16, v10
.LBB0_15:
	s_or_b32 exec_lo, exec_lo, s1
	v_add_f16_e32 v113, v31, v59
	v_sub_f16_e32 v86, v59, v31
	v_sub_f16_e32 v66, v23, v10
	v_add_f16_e32 v127, v32, v56
	v_add_f16_e32 v64, v10, v23
	v_mul_f16_e32 v61, 0xbbdd, v113
	v_mul_f16_e32 v60, 0xb1e1, v86
	v_sub_f16_e32 v88, v56, v32
	v_sub_f16_e32 v68, v24, v9
	v_mul_f16_e32 v70, 0x3b76, v127
	v_fmamk_f16 v67, v66, 0x31e1, v61
	v_add_f16_e32 v65, v9, v24
	v_fmamk_f16 v62, v64, 0xbbdd, v60
	v_mul_f16_e32 v63, 0x35c8, v88
	v_fmamk_f16 v71, v68, 0xb5c8, v70
	v_add_f16_e32 v67, v50, v67
	v_sub_f16_e32 v87, v52, v33
	v_fma_f16 v60, v64, 0xbbdd, -v60
	v_add_f16_e32 v62, v41, v62
	v_fmac_f16_e32 v61, 0xb1e1, v66
	v_fmamk_f16 v69, v65, 0x3b76, v63
	v_add_f16_e32 v71, v71, v67
	v_add_f16_e32 v67, v12, v17
	;; [unrolled: 1-line block ×3, first 2 shown]
	v_mul_f16_e32 v72, 0xb836, v87
	v_add_f16_e32 v60, v41, v60
	v_add_f16_e32 v61, v50, v61
	;; [unrolled: 1-line block ×3, first 2 shown]
	v_fma_f16 v63, v65, 0x3b76, -v63
	v_fmac_f16_e32 v70, 0x35c8, v68
	v_sub_f16_e32 v69, v17, v12
	v_mul_f16_e32 v73, 0xbacd, v141
	v_fmamk_f16 v74, v67, 0xbacd, v72
	v_sub_f16_e32 v90, v57, v34
	v_add_f16_e32 v60, v63, v60
	v_add_f16_e32 v61, v70, v61
	v_fmamk_f16 v63, v69, 0x3836, v73
	v_add_f16_e32 v62, v74, v62
	v_add_f16_e32 v70, v11, v18
	v_mul_f16_e32 v74, 0x3964, v90
	v_add_f16_e32 v111, v34, v57
	v_add_f16_e32 v63, v63, v71
	v_fmac_f16_e32 v73, 0xb836, v69
	v_sub_f16_e32 v71, v18, v11
	v_fmamk_f16 v75, v70, 0x39e9, v74
	v_mul_f16_e32 v76, 0x39e9, v111
	v_add_f16_e32 v117, v35, v58
	v_fma_f16 v72, v67, 0xbacd, -v72
	v_add_f16_e32 v61, v73, v61
	v_add_f16_e32 v62, v75, v62
	v_sub_f16_e32 v91, v58, v35
	v_fmamk_f16 v75, v71, 0xb964, v76
	v_sub_f16_e32 v73, v19, v14
	v_mul_f16_e32 v78, 0xb8d2, v117
	v_add_f16_e32 v60, v72, v60
	v_add_f16_e32 v72, v14, v19
	v_mul_f16_e32 v77, 0xba62, v91
	v_fma_f16 v74, v70, 0x39e9, -v74
	v_add_f16_e32 v63, v75, v63
	v_fmac_f16_e32 v76, 0x3964, v71
	v_fmamk_f16 v79, v73, 0x3a62, v78
	v_sub_f16_e32 v92, v54, v37
	v_fmamk_f16 v75, v72, 0xb8d2, v77
	v_add_f16_e32 v60, v74, v60
	v_add_f16_e32 v61, v76, v61
	;; [unrolled: 1-line block ×4, first 2 shown]
	v_mul_f16_e32 v79, 0x3b29, v92
	v_add_f16_e32 v132, v37, v54
	v_fma_f16 v76, v72, 0xb8d2, -v77
	v_sub_f16_e32 v97, v55, v38
	v_add_f16_e32 v62, v75, v62
	v_fmac_f16_e32 v78, 0xba62, v73
	v_sub_f16_e32 v75, v20, v13
	v_fmamk_f16 v77, v74, 0x3722, v79
	v_mul_f16_e32 v80, 0x3722, v132
	v_add_f16_e32 v60, v76, v60
	v_add_f16_e32 v76, v16, v21
	v_mul_f16_e32 v81, 0xbbb2, v97
	v_add_f16_e32 v128, v38, v55
	v_add_f16_e32 v61, v78, v61
	;; [unrolled: 1-line block ×3, first 2 shown]
	v_fmamk_f16 v78, v75, 0xbb29, v80
	v_fma_f16 v79, v74, 0x3722, -v79
	v_fmac_f16_e32 v80, 0x3b29, v75
	v_sub_f16_e32 v77, v21, v16
	v_fmamk_f16 v82, v76, 0xb461, v81
	v_mul_f16_e32 v83, 0xb461, v128
	v_sub_f16_e32 v109, v53, v51
	v_add_f16_e32 v123, v51, v53
	v_add_f16_e32 v63, v78, v63
	;; [unrolled: 1-line block ×5, first 2 shown]
	v_fmamk_f16 v80, v77, 0x3bb2, v83
	v_fma_f16 v81, v76, 0xb461, -v81
	v_fmac_f16_e32 v83, 0xbbb2, v77
	v_add_f16_e32 v78, v15, v22
	v_sub_f16_e32 v79, v22, v15
	v_mul_f16_e32 v82, 0x3bf7, v109
	v_mul_f16_e32 v84, 0x2de8, v123
	v_add_f16_e32 v63, v80, v63
	v_add_f16_e32 v80, v81, v60
	;; [unrolled: 1-line block ×3, first 2 shown]
	v_fmamk_f16 v60, v78, 0x2de8, v82
	v_fmamk_f16 v61, v79, 0xbbf7, v84
	v_fma_f16 v82, v78, 0x2de8, -v82
	v_fmac_f16_e32 v84, 0x3bf7, v79
	v_add_f16_e32 v60, v60, v62
	v_add_f16_e32 v61, v61, v63
	;; [unrolled: 1-line block ×4, first 2 shown]
	s_barrier
	buffer_gl0_inv
	s_and_saveexec_b32 s1, vcc_lo
	s_cbranch_execz .LBB0_17
; %bb.16:
	v_mul_f16_e32 v120, 0xbacd, v113
	v_mul_f16_e32 v105, 0x3722, v127
	;; [unrolled: 1-line block ×5, first 2 shown]
	v_fmamk_f16 v80, v66, 0x3836, v120
	v_fmamk_f16 v81, v68, 0xbb29, v105
	v_mul_f16_e32 v121, 0x3b29, v88
	v_fmamk_f16 v82, v69, 0x3bf7, v104
	v_mul_f16_e32 v101, 0x3b76, v117
	v_add_f16_e32 v80, v50, v80
	v_mul_f16_e32 v119, 0xbbf7, v87
	v_fmamk_f16 v83, v71, 0xba62, v102
	v_mul_f16_e32 v100, 0xbbdd, v132
	v_mul_f16_e32 v118, 0x3a62, v90
	v_add_f16_e32 v80, v81, v80
	v_fmamk_f16 v81, v64, 0xbacd, v125
	v_fmamk_f16 v84, v73, 0x35c8, v101
	v_mul_f16_e32 v95, 0x39e9, v128
	v_mul_f16_e32 v114, 0xb5c8, v91
	v_add_f16_e32 v80, v82, v80
	v_fmamk_f16 v82, v65, 0x3722, v121
	v_add_f16_e32 v81, v41, v81
	v_mul_f16_e32 v103, 0xb8d2, v113
	v_mul_f16_e32 v94, 0xb461, v123
	v_add_f16_e32 v80, v83, v80
	v_fmamk_f16 v83, v67, 0x2de8, v119
	v_add_f16_e32 v81, v82, v81
	v_fmamk_f16 v82, v75, 0x31e1, v100
	v_mul_f16_e32 v115, 0xb1e1, v92
	v_add_f16_e32 v80, v84, v80
	v_fmamk_f16 v84, v70, 0xb8d2, v118
	v_add_f16_e32 v81, v83, v81
	v_fmamk_f16 v83, v77, 0xb964, v95
	v_fmamk_f16 v85, v72, 0x3b76, v114
	v_add_f16_e32 v80, v82, v80
	v_mul_f16_e32 v96, 0xb461, v127
	v_add_f16_e32 v81, v84, v81
	v_fmamk_f16 v84, v66, 0x3a62, v103
	v_mul_f16_e32 v116, 0x3964, v97
	v_fmamk_f16 v82, v79, 0x3bb2, v94
	v_add_f16_e32 v80, v83, v80
	v_fmamk_f16 v83, v74, 0xbbdd, v115
	v_add_f16_e32 v81, v85, v81
	v_add_f16_e32 v84, v50, v84
	v_fmamk_f16 v85, v68, 0xbbb2, v96
	v_mul_f16_e32 v98, 0x3b76, v141
	v_add_f16_e32 v80, v82, v80
	v_add_f16_e32 v81, v83, v81
	v_fmamk_f16 v82, v76, 0x39e9, v116
	v_add_f16_e32 v83, v85, v84
	v_fmamk_f16 v84, v69, 0x35c8, v98
	v_mul_f16_e32 v99, 0xbacd, v111
	v_mul_f16_e32 v135, 0xba62, v86
	v_add_f16_e32 v81, v82, v81
	v_mul_f16_e32 v106, 0x2de8, v117
	v_add_f16_e32 v82, v84, v83
	v_fmamk_f16 v83, v71, 0x3836, v99
	v_fmamk_f16 v85, v64, 0xb8d2, v135
	v_mul_f16_e32 v138, 0x3bb2, v88
	v_mul_f16_e32 v122, 0xbbb2, v109
	v_mul_f16_e32 v107, 0x39e9, v132
	v_add_f16_e32 v82, v83, v82
	v_fmamk_f16 v83, v73, 0xbbf7, v106
	v_add_f16_e32 v85, v41, v85
	v_fmamk_f16 v89, v65, 0xb461, v138
	v_mul_f16_e32 v130, 0xb5c8, v87
	v_fmamk_f16 v84, v78, 0xb461, v122
	v_add_f16_e32 v82, v83, v82
	v_fmamk_f16 v83, v75, 0x3964, v107
	v_mul_f16_e32 v108, 0xbbdd, v128
	v_add_f16_e32 v85, v89, v85
	v_fmamk_f16 v89, v67, 0x3b76, v130
	v_mul_f16_e32 v131, 0xb836, v90
	v_add_f16_e32 v81, v84, v81
	v_add_f16_e32 v82, v83, v82
	v_fmamk_f16 v83, v77, 0x31e1, v108
	v_add_f16_e32 v84, v89, v85
	v_fmamk_f16 v85, v70, 0xbacd, v131
	v_mul_f16_e32 v133, 0x3bf7, v91
	v_mul_f16_e32 v147, 0xb461, v113
	v_mul_f16_e32 v110, 0x3722, v123
	v_add_f16_e32 v82, v83, v82
	v_add_f16_e32 v83, v85, v84
	v_fmamk_f16 v84, v72, 0x2de8, v133
	v_mul_f16_e32 v137, 0xb964, v92
	v_fmamk_f16 v89, v66, 0x3bb2, v147
	v_mul_f16_e32 v148, 0xbacd, v127
	v_fmamk_f16 v85, v79, 0xbb29, v110
	v_add_f16_e32 v83, v84, v83
	v_fmamk_f16 v84, v74, 0x39e9, v137
	v_mul_f16_e32 v139, 0xb1e1, v97
	v_add_f16_e32 v89, v50, v89
	v_fmamk_f16 v93, v68, 0xb836, v148
	v_mul_f16_e32 v149, 0x39e9, v141
	v_add_f16_e32 v82, v85, v82
	v_add_f16_e32 v83, v84, v83
	v_fmamk_f16 v84, v76, 0xbbdd, v139
	v_add_f16_e32 v85, v93, v89
	v_fmamk_f16 v89, v69, 0xb964, v149
	v_mul_f16_e32 v150, 0x3722, v111
	v_mul_f16_e32 v146, 0xbbb2, v86
	v_add_f16_e32 v83, v84, v83
	v_mul_f16_e32 v159, 0xbbdd, v117
	v_add_f16_e32 v84, v89, v85
	v_fmamk_f16 v85, v71, 0x3b29, v150
	v_fmamk_f16 v93, v64, 0xb461, v146
	v_mul_f16_e32 v140, 0x3836, v88
	v_mul_f16_e32 v143, 0x3b29, v109
	v_mul_f16_e32 v160, 0x2de8, v132
	v_add_f16_e32 v84, v85, v84
	v_fmamk_f16 v85, v73, 0x31e1, v159
	v_add_f16_e32 v93, v41, v93
	v_fmamk_f16 v112, v65, 0xbacd, v140
	v_mul_f16_e32 v124, 0x3964, v87
	v_fmamk_f16 v89, v78, 0x3722, v143
	v_add_f16_e32 v84, v85, v84
	v_fmamk_f16 v85, v75, 0xbbf7, v160
	v_mul_f16_e32 v145, 0x3b76, v128
	v_add_f16_e32 v93, v112, v93
	v_fmamk_f16 v112, v67, 0x39e9, v124
	v_mul_f16_e32 v126, 0xbb29, v90
	v_add_f16_e32 v83, v89, v83
	v_add_f16_e32 v84, v85, v84
	v_fmamk_f16 v85, v77, 0x35c8, v145
	v_add_f16_e32 v89, v112, v93
	v_fmamk_f16 v93, v70, 0x3722, v126
	v_mul_f16_e32 v129, 0xb1e1, v91
	v_mul_f16_e32 v165, 0x2de8, v113
	v_mul_f16_e32 v154, 0xb8d2, v123
	v_add_f16_e32 v84, v85, v84
	v_add_f16_e32 v85, v93, v89
	v_fmamk_f16 v89, v72, 0xbbdd, v129
	v_mul_f16_e32 v134, 0x3bf7, v92
	v_fmamk_f16 v112, v66, 0x3bf7, v165
	v_mul_f16_e32 v151, 0xbbdd, v127
	v_fmamk_f16 v93, v79, 0x3a62, v154
	v_add_f16_e32 v85, v89, v85
	v_fmamk_f16 v89, v74, 0x2de8, v134
	v_mul_f16_e32 v136, 0xb5c8, v97
	;; [unrolled: 48-line block ×3, first 2 shown]
	v_add_f16_e32 v156, v50, v153
	v_fmamk_f16 v161, v68, 0x3a62, v152
	v_mul_f16_e32 v153, 0xbbdd, v141
	v_add_f16_e32 v89, v144, v89
	v_add_f16_e32 v93, v112, v93
	v_fmamk_f16 v112, v76, 0xb8d2, v182
	v_add_f16_e32 v144, v161, v156
	v_fmamk_f16 v161, v69, 0xb1e1, v153
	v_mul_f16_e32 v156, 0xb461, v111
	v_mul_f16_e32 v183, 0xbb29, v86
	v_add_f16_e32 v93, v112, v93
	v_mul_f16_e32 v185, 0xba62, v88
	v_add_f16_e32 v112, v161, v144
	v_fmamk_f16 v144, v71, 0xbbb2, v156
	v_mul_f16_e32 v161, 0x39e9, v117
	v_fmamk_f16 v163, v64, 0x3722, v183
	v_mul_f16_e32 v162, 0x3b76, v132
	v_fmamk_f16 v177, v65, 0xb8d2, v185
	v_add_f16_e32 v112, v144, v112
	v_fmamk_f16 v144, v73, 0xb964, v161
	v_add_f16_e32 v175, v41, v163
	v_mul_f16_e32 v178, 0x31e1, v87
	v_mul_f16_e32 v171, 0x3964, v109
	v_mul_f16_e32 v163, 0x2de8, v128
	v_add_f16_e32 v112, v144, v112
	v_fmamk_f16 v144, v75, 0x35c8, v162
	v_add_f16_e32 v175, v177, v175
	v_fmamk_f16 v177, v67, 0xbbdd, v178
	v_mul_f16_e32 v179, 0x3bb2, v90
	v_fmamk_f16 v164, v78, 0x39e9, v171
	v_add_f16_e32 v112, v144, v112
	v_fmamk_f16 v144, v77, 0x3bf7, v163
	v_add_f16_e32 v175, v177, v175
	v_fmamk_f16 v177, v70, 0xb461, v179
	v_mul_f16_e32 v180, 0x3964, v91
	v_mul_f16_e32 v191, 0x39e9, v113
	v_add_f16_e32 v93, v164, v93
	v_mul_f16_e32 v164, 0xbacd, v123
	v_add_f16_e32 v112, v144, v112
	v_add_f16_e32 v144, v177, v175
	v_fmamk_f16 v175, v72, 0x39e9, v180
	v_mul_f16_e32 v184, 0xb5c8, v92
	v_fmamk_f16 v187, v66, 0x3964, v191
	v_mul_f16_e32 v192, 0x2de8, v127
	v_fmamk_f16 v177, v79, 0x3836, v164
	v_add_f16_e32 v144, v175, v144
	v_fmamk_f16 v175, v74, 0x3b76, v184
	v_mul_f16_e32 v186, 0xbbf7, v97
	v_add_f16_e32 v187, v50, v187
	v_fmamk_f16 v188, v68, 0x3bf7, v192
	v_mul_f16_e32 v193, 0xb8d2, v141
	v_add_f16_e32 v112, v177, v112
	v_add_f16_e32 v144, v175, v144
	v_fmamk_f16 v175, v76, 0x2de8, v186
	v_add_f16_e32 v177, v188, v187
	v_fmamk_f16 v187, v69, 0x3a62, v193
	v_mul_f16_e32 v194, 0xbbdd, v111
	v_mul_f16_e32 v188, 0xb836, v109
	v_add_f16_e32 v144, v175, v144
	v_mul_f16_e32 v189, 0xb964, v86
	v_add_f16_e32 v175, v187, v177
	v_fmamk_f16 v177, v71, 0x31e1, v194
	v_mul_f16_e32 v196, 0xbacd, v117
	v_fmamk_f16 v190, v78, 0xbacd, v188
	v_fmamk_f16 v195, v64, 0x39e9, v189
	v_mul_f16_e32 v187, 0xbbf7, v88
	v_add_f16_e32 v177, v177, v175
	v_fmamk_f16 v198, v73, 0xb836, v196
	v_mul_f16_e32 v197, 0xb461, v132
	v_add_f16_e32 v195, v41, v195
	;; [unrolled: 3-line block ×3, first 2 shown]
	v_add_f16_e32 v190, v198, v177
	v_fmamk_f16 v198, v75, 0xbbb2, v197
	v_add_f16_e32 v199, v199, v195
	v_fmamk_f16 v200, v67, 0xb8d2, v175
	v_mul_f16_e32 v177, 0xb1e1, v90
	v_mul_f16_e32 v195, 0x3722, v128
	v_add_f16_e32 v201, v198, v190
	v_mul_f16_e32 v198, 0x3b76, v113
	v_add_f16_e32 v199, v200, v199
	v_fmamk_f16 v200, v70, 0xbbdd, v177
	v_mul_f16_e32 v113, 0x3836, v91
	v_mul_f16_e32 v190, 0x39e9, v127
	v_fmamk_f16 v203, v66, 0x35c8, v198
	v_fmamk_f16 v202, v77, 0xbb29, v195
	v_add_f16_e32 v199, v200, v199
	v_fmamk_f16 v200, v72, 0xbacd, v113
	v_mul_f16_e32 v127, 0x3bb2, v92
	v_add_f16_e32 v203, v50, v203
	v_fmamk_f16 v204, v68, 0x3964, v190
	v_mul_f16_e32 v141, 0x3722, v141
	v_add_f16_e32 v201, v202, v201
	v_add_f16_e32 v200, v200, v199
	v_fmamk_f16 v202, v74, 0xb461, v127
	v_add_f16_e32 v203, v204, v203
	v_mul_f16_e32 v199, 0x3b29, v97
	v_fmamk_f16 v205, v69, 0x3b29, v141
	v_mul_f16_e32 v111, 0x2de8, v111
	v_add_f16_e32 v204, v23, v41
	v_add_f16_e32 v200, v202, v200
	v_fmamk_f16 v202, v76, 0x3722, v199
	v_mul_f16_e32 v23, 0x3b76, v123
	v_add_f16_e32 v203, v205, v203
	v_fmamk_f16 v205, v71, 0x3bf7, v111
	v_add_f16_e32 v204, v24, v204
	v_mul_f16_e32 v206, 0xb461, v117
	v_add_f16_e32 v200, v202, v200
	v_fmamk_f16 v24, v79, 0xb5c8, v23
	v_add_f16_e32 v202, v205, v203
	v_mul_f16_e32 v117, 0x35c8, v109
	v_mul_f16_e32 v203, 0xb5c8, v86
	v_fmamk_f16 v86, v73, 0x3bb2, v206
	v_add_f16_e32 v24, v24, v201
	v_mul_f16_e32 v88, 0xb964, v88
	v_fmamk_f16 v201, v78, 0x3b76, v117
	v_fmamk_f16 v205, v64, 0x3b76, v203
	v_add_f16_e32 v59, v59, v50
	v_add_f16_e32 v202, v86, v202
	v_mul_f16_e32 v87, 0xbb29, v87
	v_add_f16_e32 v86, v201, v200
	v_add_f16_e32 v200, v41, v205
	v_fmamk_f16 v201, v65, 0x39e9, v88
	v_add_f16_e32 v17, v17, v204
	v_add_f16_e32 v56, v56, v59
	v_fmamk_f16 v59, v67, 0x3722, v87
	v_mul_f16_e32 v90, 0xbbf7, v90
	v_add_f16_e32 v200, v201, v200
	v_add_f16_e32 v17, v18, v17
	;; [unrolled: 1-line block ×3, first 2 shown]
	v_fmac_f16_e32 v120, 0xb836, v66
	v_fmamk_f16 v56, v70, 0x2de8, v90
	v_add_f16_e32 v52, v59, v200
	v_mul_f16_e32 v59, 0xbbb2, v91
	v_add_f16_e32 v17, v19, v17
	v_add_f16_e32 v18, v57, v18
	v_fmac_f16_e32 v105, 0x3b29, v68
	v_add_f16_e32 v52, v56, v52
	v_fmamk_f16 v56, v72, 0xb461, v59
	v_add_f16_e32 v17, v20, v17
	v_add_f16_e32 v18, v58, v18
	v_mul_f16_e32 v20, 0xba62, v92
	v_fmac_f16_e32 v104, 0xbbf7, v69
	v_add_f16_e32 v52, v56, v52
	v_add_f16_e32 v17, v21, v17
	v_add_f16_e32 v18, v54, v18
	v_fmamk_f16 v21, v74, 0xb8d2, v20
	v_mul_f16_e32 v54, 0xb836, v97
	v_fmac_f16_e32 v102, 0x3a62, v71
	v_add_f16_e32 v17, v22, v17
	v_add_f16_e32 v18, v55, v18
	;; [unrolled: 1-line block ×3, first 2 shown]
	v_fmamk_f16 v22, v76, 0xbacd, v54
	v_mul_f16_e32 v52, 0xb1e1, v109
	v_add_f16_e32 v15, v15, v17
	v_add_f16_e32 v17, v53, v18
	v_fmac_f16_e32 v101, 0xb5c8, v73
	v_add_f16_e32 v18, v22, v21
	v_fmamk_f16 v21, v78, 0xbbdd, v52
	v_add_f16_e32 v15, v16, v15
	v_add_f16_e32 v16, v51, v17
	v_add_f16_e32 v17, v50, v120
	v_fmac_f16_e32 v100, 0xb1e1, v75
	v_add_f16_e32 v18, v21, v18
	v_fma_f16 v21, v64, 0xbacd, -v125
	v_add_f16_e32 v13, v13, v15
	v_add_f16_e32 v15, v38, v16
	v_add_f16_e32 v16, v105, v17
	v_fmac_f16_e32 v95, 0x3964, v77
	v_add_f16_e32 v17, v41, v21
	v_fma_f16 v21, v65, 0x3722, -v121
	;; [unrolled: 6-line block ×5, first 2 shown]
	v_add_f16_e32 v9, v9, v11
	v_add_f16_e32 v11, v33, v12
	;; [unrolled: 1-line block ×3, first 2 shown]
	v_fma_f16 v16, v65, 0xb461, -v138
	v_add_f16_e32 v13, v15, v14
	v_fma_f16 v14, v74, 0xbbdd, -v115
	v_add_f16_e32 v9, v10, v9
	v_add_f16_e32 v10, v32, v11
	;; [unrolled: 1-line block ×5, first 2 shown]
	v_fma_f16 v13, v76, 0x39e9, -v116
	v_fma_f16 v14, v64, 0xb8d2, -v135
	v_fmac_f16_e32 v148, 0x3836, v68
	v_fmac_f16_e32 v149, 0x3964, v69
	;; [unrolled: 1-line block ×3, first 2 shown]
	v_add_f16_e32 v12, v13, v12
	v_fma_f16 v13, v78, 0xb461, -v122
	v_add_f16_e32 v14, v41, v14
	v_fmac_f16_e32 v159, 0xb1e1, v73
	v_fmac_f16_e32 v160, 0x3bf7, v75
	;; [unrolled: 1-line block ×3, first 2 shown]
	v_add_f16_e32 v12, v13, v12
	v_add_f16_e32 v13, v96, v15
	v_add_f16_e32 v14, v16, v14
	v_fma_f16 v15, v67, 0x3b76, -v130
	v_add_f16_e32 v16, v50, v147
	v_fma_f16 v17, v64, 0xb461, -v146
	v_fmac_f16_e32 v165, 0xbbf7, v66
	v_fmac_f16_e32 v151, 0xb1e1, v68
	v_add_f16_e32 v14, v15, v14
	v_fma_f16 v15, v70, 0xbacd, -v131
	v_add_f16_e32 v16, v148, v16
	v_add_f16_e32 v21, v50, v165
	v_fma_f16 v22, v64, 0x2de8, -v170
	v_fmac_f16_e32 v155, 0x3bb2, v69
	v_add_f16_e32 v14, v15, v14
	v_fma_f16 v15, v72, 0x2de8, -v133
	v_add_f16_e32 v16, v149, v16
	v_add_f16_e32 v21, v151, v21
	;; [unrolled: 1-line block ×5, first 2 shown]
	v_fma_f16 v15, v74, 0x39e9, -v137
	v_add_f16_e32 v16, v150, v16
	v_fma_f16 v31, v65, 0xbbdd, -v172
	v_add_f16_e32 v21, v155, v21
	v_fmac_f16_e32 v157, 0x35c8, v71
	v_add_f16_e32 v14, v15, v14
	v_fma_f16 v15, v76, 0xbbdd, -v139
	v_add_f16_e32 v16, v159, v16
	v_add_f16_e32 v22, v31, v22
	v_fma_f16 v31, v67, 0xb461, -v173
	v_add_f16_e32 v21, v157, v21
	;; [unrolled: 3-line block ×3, first 2 shown]
	v_fmac_f16_e32 v166, 0xbb29, v73
	v_add_f16_e32 v22, v31, v22
	v_fma_f16 v31, v70, 0x3b76, -v174
	v_add_f16_e32 v14, v15, v14
	v_add_f16_e32 v15, v145, v16
	;; [unrolled: 1-line block ×3, first 2 shown]
	v_fma_f16 v17, v65, 0xbacd, -v140
	v_add_f16_e32 v21, v166, v21
	v_fmac_f16_e32 v167, 0xb836, v75
	v_add_f16_e32 v22, v31, v22
	v_fma_f16 v31, v72, 0x3722, -v176
	v_add_f16_e32 v16, v17, v16
	v_fma_f16 v17, v67, 0x39e9, -v124
	v_add_f16_e32 v21, v167, v21
	v_fmac_f16_e32 v168, 0x3a62, v77
	v_add_f16_e32 v22, v31, v22
	v_fma_f16 v31, v74, 0xbacd, -v181
	v_add_f16_e32 v16, v17, v16
	;; [unrolled: 6-line block ×3, first 2 shown]
	v_fma_f16 v17, v72, 0xbbdd, -v129
	v_fmac_f16_e32 v158, 0xbb29, v66
	v_fmac_f16_e32 v152, 0xba62, v68
	v_add_f16_e32 v22, v31, v22
	v_fma_f16 v31, v78, 0x39e9, -v171
	v_add_f16_e32 v16, v17, v16
	v_fma_f16 v17, v74, 0x2de8, -v134
	;; [unrolled: 2-line block ×3, first 2 shown]
	v_fmac_f16_e32 v191, 0xb964, v66
	v_add_f16_e32 v22, v31, v22
	v_add_f16_e32 v16, v17, v16
	v_fma_f16 v17, v76, 0x3b76, -v136
	v_add_f16_e32 v31, v152, v32
	v_fma_f16 v32, v67, 0xbbdd, -v178
	v_fmac_f16_e32 v192, 0xbbf7, v68
	v_fmac_f16_e32 v193, 0xba62, v69
	v_add_f16_e32 v16, v17, v16
	v_fma_f16 v17, v78, 0xb8d2, -v142
	v_fmac_f16_e32 v194, 0xb1e1, v71
	v_fmac_f16_e32 v196, 0x3836, v73
	;; [unrolled: 1-line block ×4, first 2 shown]
	v_add_f16_e32 v16, v17, v16
	v_add_f16_e32 v17, v169, v21
	v_fma_f16 v21, v64, 0x3722, -v183
	v_fma_f16 v34, v64, 0x39e9, -v189
	v_fmac_f16_e32 v198, 0xb5c8, v66
	v_fma_f16 v37, v64, 0x3b76, -v203
	v_fmac_f16_e32 v190, 0xb964, v68
	v_add_f16_e32 v21, v41, v21
	v_fma_f16 v38, v65, 0x39e9, -v88
	v_add_f16_e32 v35, v50, v198
	v_add_f16_e32 v37, v41, v37
	v_fmac_f16_e32 v98, 0xb5c8, v69
	v_add_f16_e32 v21, v33, v21
	v_add_f16_e32 v33, v50, v191
	;; [unrolled: 1-line block ×3, first 2 shown]
	v_fmac_f16_e32 v141, 0xbb29, v69
	v_fmac_f16_e32 v153, 0x31e1, v69
	v_add_f16_e32 v21, v32, v21
	v_fma_f16 v32, v70, 0xb461, -v179
	v_add_f16_e32 v33, v192, v33
	v_add_f16_e32 v37, v38, v37
	v_fma_f16 v38, v67, 0x3722, -v87
	v_mul_f16_e32 v132, 0xb8d2, v132
	v_add_f16_e32 v21, v32, v21
	v_fma_f16 v32, v72, 0x39e9, -v180
	v_add_f16_e32 v33, v193, v33
	v_add_f16_e32 v13, v98, v13
	v_fmac_f16_e32 v99, 0xb836, v71
	v_add_f16_e32 v35, v141, v35
	v_add_f16_e32 v21, v32, v21
	v_fma_f16 v32, v74, 0x3b76, -v184
	v_add_f16_e32 v33, v194, v33
	v_fmac_f16_e32 v111, 0xbbf7, v71
	v_add_f16_e32 v31, v153, v31
	v_fmac_f16_e32 v156, 0x3bb2, v71
	v_add_f16_e32 v21, v32, v21
	v_fma_f16 v32, v76, 0x2de8, -v186
	v_add_f16_e32 v33, v196, v33
	v_add_f16_e32 v37, v38, v37
	v_fma_f16 v38, v70, 0x2de8, -v90
	v_fmamk_f16 v207, v75, 0x3a62, v132
	v_add_f16_e32 v21, v32, v21
	v_fma_f16 v32, v78, 0xbacd, -v188
	v_add_f16_e32 v33, v197, v33
	v_mul_f16_e32 v128, 0xbacd, v128
	v_add_f16_e32 v13, v99, v13
	v_fmac_f16_e32 v106, 0x3bf7, v73
	v_add_f16_e32 v21, v32, v21
	v_add_f16_e32 v32, v195, v33
	;; [unrolled: 1-line block ×3, first 2 shown]
	v_fma_f16 v34, v65, 0x2de8, -v187
	v_add_f16_e32 v35, v111, v35
	v_fmac_f16_e32 v206, 0xbbb2, v73
	v_add_f16_e32 v31, v156, v31
	v_fmac_f16_e32 v161, 0x3964, v73
	v_add_f16_e32 v33, v34, v33
	v_fma_f16 v34, v67, 0xb8d2, -v175
	v_add_f16_e32 v37, v38, v37
	v_fma_f16 v38, v72, 0xb461, -v59
	v_add_f16_e32 v202, v207, v202
	v_fmamk_f16 v201, v77, 0x3836, v128
	v_add_f16_e32 v33, v34, v33
	v_fma_f16 v34, v70, 0xbbdd, -v177
	v_mul_f16_e32 v19, 0xbbdd, v123
	v_add_f16_e32 v13, v106, v13
	v_fmac_f16_e32 v107, 0xb964, v75
	v_add_f16_e32 v35, v206, v35
	v_add_f16_e32 v33, v34, v33
	v_fma_f16 v34, v72, 0xbacd, -v113
	v_fmac_f16_e32 v132, 0xba62, v75
	v_add_f16_e32 v31, v161, v31
	v_fmac_f16_e32 v162, 0xb5c8, v75
	v_add_f16_e32 v37, v38, v37
	v_add_f16_e32 v33, v34, v33
	v_fma_f16 v34, v74, 0xb461, -v127
	v_fma_f16 v20, v74, 0xb8d2, -v20
	v_add_f16_e32 v201, v201, v202
	v_fmamk_f16 v57, v79, 0x31e1, v19
	v_add_f16_e32 v13, v107, v13
	v_add_f16_e32 v33, v34, v33
	v_fma_f16 v34, v76, 0x3722, -v199
	v_fmac_f16_e32 v108, 0xb1e1, v77
	v_add_f16_e32 v35, v132, v35
	v_fmac_f16_e32 v128, 0xb836, v77
	v_add_f16_e32 v31, v162, v31
	v_fmac_f16_e32 v163, 0xbbf7, v77
	v_fmac_f16_e32 v23, 0x35c8, v79
	v_add_f16_e32 v33, v34, v33
	v_fma_f16 v34, v78, 0x3b76, -v117
	v_add_f16_e32 v20, v20, v37
	v_fma_f16 v37, v76, 0xbacd, -v54
	v_add_f16_e32 v56, v57, v201
	v_and_b32_e32 v30, 0xffff, v30
	v_fmac_f16_e32 v94, 0xbbb2, v79
	v_add_f16_e32 v13, v108, v13
	v_fmac_f16_e32 v110, 0x3b29, v79
	v_fmac_f16_e32 v154, 0xba62, v79
	v_add_f16_e32 v35, v128, v35
	v_fmac_f16_e32 v19, 0xb1e1, v79
	v_add_f16_e32 v31, v163, v31
	v_fmac_f16_e32 v164, 0xb836, v79
	v_add_f16_e32 v23, v23, v32
	v_add_f16_e32 v32, v34, v33
	v_add_f16_e32 v20, v37, v20
	v_fma_f16 v33, v78, 0xbbdd, -v52
	v_lshl_add_u32 v30, v30, 2, v29
	v_pack_b32_f16 v18, v18, v56
	v_pack_b32_f16 v9, v9, v10
	v_add_f16_e32 v11, v94, v11
	v_add_f16_e32 v13, v110, v13
	v_pack_b32_f16 v10, v144, v112
	v_pack_b32_f16 v24, v86, v24
	v_add_f16_e32 v15, v154, v15
	v_add_f16_e32 v19, v19, v35
	v_pack_b32_f16 v34, v85, v84
	v_pack_b32_f16 v35, v93, v89
	v_add_f16_e32 v31, v164, v31
	v_pack_b32_f16 v37, v81, v80
	v_pack_b32_f16 v38, v83, v82
	v_add_f16_e32 v20, v33, v20
	ds_write2_b32 v30, v9, v18 offset1:1
	ds_write2_b32 v30, v24, v10 offset0:2 offset1:3
	ds_write2_b32 v30, v35, v34 offset0:4 offset1:5
	;; [unrolled: 1-line block ×3, first 2 shown]
	v_perm_b32 v9, v63, v62, 0x5040100
	v_perm_b32 v10, v61, v60, 0x5040100
	v_pack_b32_f16 v13, v14, v13
	v_pack_b32_f16 v11, v12, v11
	;; [unrolled: 1-line block ×7, first 2 shown]
	ds_write2_b32 v30, v10, v9 offset0:8 offset1:9
	ds_write2_b32 v30, v11, v13 offset0:10 offset1:11
	;; [unrolled: 1-line block ×4, first 2 shown]
	ds_write_b32 v30, v17 offset:64
.LBB0_17:
	s_or_b32 exec_lo, exec_lo, s1
	s_waitcnt lgkmcnt(0)
	s_barrier
	buffer_gl0_inv
	ds_read2_b32 v[11:12], v36 offset1:34
	ds_read2_b32 v[15:16], v36 offset0:153 offset1:187
	ds_read2_b32 v[9:10], v36 offset0:68 offset1:102
	;; [unrolled: 1-line block ×3, first 2 shown]
	s_and_saveexec_b32 s1, s0
	s_cbranch_execz .LBB0_19
; %bb.18:
	ds_read_b32 v60, v36 offset:544
	ds_read_b32 v62, v36 offset:1156
	s_waitcnt lgkmcnt(1)
	v_lshrrev_b32_e32 v61, 16, v60
	s_waitcnt lgkmcnt(0)
	v_lshrrev_b32_e32 v63, 16, v62
.LBB0_19:
	s_or_b32 exec_lo, exec_lo, s1
	s_waitcnt lgkmcnt(2)
	v_lshrrev_b32_e32 v17, 16, v15
	v_lshrrev_b32_e32 v20, 16, v16
	s_waitcnt lgkmcnt(0)
	v_lshrrev_b32_e32 v23, 16, v13
	v_mul_f16_sdwa v31, v43, v15 dst_sel:DWORD dst_unused:UNUSED_PAD src0_sel:WORD_1 src1_sel:DWORD
	v_lshrrev_b32_e32 v30, 16, v14
	v_mul_f16_sdwa v22, v43, v17 dst_sel:DWORD dst_unused:UNUSED_PAD src0_sel:WORD_1 src1_sel:DWORD
	v_mul_f16_sdwa v32, v45, v16 dst_sel:DWORD dst_unused:UNUSED_PAD src0_sel:WORD_1 src1_sel:DWORD
	;; [unrolled: 1-line block ×3, first 2 shown]
	v_fma_f16 v17, v43, v17, -v31
	v_mul_f16_sdwa v31, v44, v13 dst_sel:DWORD dst_unused:UNUSED_PAD src0_sel:WORD_1 src1_sel:DWORD
	v_fmac_f16_e32 v22, v43, v15
	v_mul_f16_sdwa v15, v45, v20 dst_sel:DWORD dst_unused:UNUSED_PAD src0_sel:WORD_1 src1_sel:DWORD
	v_fmac_f16_e32 v33, v44, v13
	v_mul_f16_sdwa v13, v42, v30 dst_sel:DWORD dst_unused:UNUSED_PAD src0_sel:WORD_1 src1_sel:DWORD
	v_lshrrev_b32_e32 v18, 16, v11
	v_lshrrev_b32_e32 v19, 16, v12
	v_fmac_f16_e32 v15, v45, v16
	v_fma_f16 v16, v45, v20, -v32
	v_fma_f16 v20, v44, v23, -v31
	v_mul_f16_sdwa v23, v42, v14 dst_sel:DWORD dst_unused:UNUSED_PAD src0_sel:WORD_1 src1_sel:DWORD
	v_lshrrev_b32_e32 v21, 16, v9
	v_lshrrev_b32_e32 v24, 16, v10
	v_fmac_f16_e32 v13, v42, v14
	v_sub_f16_e32 v14, v12, v15
	v_fma_f16 v15, v42, v30, -v23
	v_sub_f16_e32 v22, v11, v22
	v_sub_f16_e32 v17, v18, v17
	;; [unrolled: 1-line block ×7, first 2 shown]
	v_fma_f16 v11, v11, 2.0, -v22
	v_fma_f16 v18, v18, 2.0, -v17
	;; [unrolled: 1-line block ×8, first 2 shown]
	v_pack_b32_f16 v11, v11, v18
	v_pack_b32_f16 v17, v22, v17
	;; [unrolled: 1-line block ×8, first 2 shown]
	s_barrier
	buffer_gl0_inv
	ds_write2_b32 v46, v11, v17 offset1:17
	ds_write2_b32 v49, v12, v14 offset1:17
	;; [unrolled: 1-line block ×4, first 2 shown]
	s_and_saveexec_b32 s1, s0
	s_cbranch_execz .LBB0_21
; %bb.20:
	v_mul_f16_sdwa v9, v40, v63 dst_sel:DWORD dst_unused:UNUSED_PAD src0_sel:WORD_1 src1_sel:DWORD
	v_mul_f16_sdwa v10, v40, v62 dst_sel:DWORD dst_unused:UNUSED_PAD src0_sel:WORD_1 src1_sel:DWORD
	v_lshl_add_u32 v13, v39, 2, v29
	v_fmac_f16_e32 v9, v40, v62
	v_fma_f16 v10, v40, v63, -v10
	v_sub_f16_e32 v9, v60, v9
	v_sub_f16_e32 v10, v61, v10
	v_fma_f16 v11, v60, 2.0, -v9
	v_fma_f16 v12, v61, 2.0, -v10
	v_pack_b32_f16 v9, v9, v10
	v_pack_b32_f16 v10, v11, v12
	v_add_nc_u32_e32 v11, 0x400, v13
	ds_write2_b32 v11, v10, v9 offset0:16 offset1:33
.LBB0_21:
	s_or_b32 exec_lo, exec_lo, s1
	s_waitcnt lgkmcnt(0)
	s_barrier
	buffer_gl0_inv
	ds_read2_b32 v[9:10], v36 offset1:34
	ds_read2_b32 v[11:12], v36 offset0:68 offset1:102
	ds_read2_b32 v[13:14], v36 offset0:136 offset1:170
	;; [unrolled: 1-line block ×3, first 2 shown]
	ds_read_b32 v17, v36 offset:1088
	s_waitcnt lgkmcnt(4)
	v_lshrrev_b32_e32 v19, 16, v10
	s_waitcnt lgkmcnt(3)
	v_lshrrev_b32_e32 v20, 16, v11
	v_mul_f16_sdwa v31, v4, v10 dst_sel:DWORD dst_unused:UNUSED_PAD src0_sel:WORD_1 src1_sel:DWORD
	v_lshrrev_b32_e32 v21, 16, v12
	s_waitcnt lgkmcnt(2)
	v_lshrrev_b32_e32 v22, 16, v13
	v_lshrrev_b32_e32 v23, 16, v14
	v_mul_f16_sdwa v32, v5, v11 dst_sel:DWORD dst_unused:UNUSED_PAD src0_sel:WORD_1 src1_sel:DWORD
	v_mul_f16_sdwa v33, v6, v12 dst_sel:DWORD dst_unused:UNUSED_PAD src0_sel:WORD_1 src1_sel:DWORD
	;; [unrolled: 1-line block ×3, first 2 shown]
	v_fma_f16 v19, v4, v19, -v31
	v_mul_f16_sdwa v31, v5, v20 dst_sel:DWORD dst_unused:UNUSED_PAD src0_sel:WORD_1 src1_sel:DWORD
	s_waitcnt lgkmcnt(1)
	v_lshrrev_b32_e32 v29, 16, v16
	s_waitcnt lgkmcnt(0)
	v_lshrrev_b32_e32 v30, 16, v17
	v_fma_f16 v20, v5, v20, -v32
	v_mul_f16_sdwa v32, v6, v21 dst_sel:DWORD dst_unused:UNUSED_PAD src0_sel:WORD_1 src1_sel:DWORD
	v_fma_f16 v21, v6, v21, -v33
	v_mul_f16_sdwa v33, v7, v22 dst_sel:DWORD dst_unused:UNUSED_PAD src0_sel:WORD_1 src1_sel:DWORD
	v_fmac_f16_e32 v35, v4, v10
	v_fmac_f16_e32 v31, v5, v11
	v_mul_f16_sdwa v4, v0, v23 dst_sel:DWORD dst_unused:UNUSED_PAD src0_sel:WORD_1 src1_sel:DWORD
	v_mul_f16_sdwa v5, v0, v14 dst_sel:DWORD dst_unused:UNUSED_PAD src0_sel:WORD_1 src1_sel:DWORD
	v_lshrrev_b32_e32 v24, 16, v15
	v_mul_f16_sdwa v34, v7, v13 dst_sel:DWORD dst_unused:UNUSED_PAD src0_sel:WORD_1 src1_sel:DWORD
	v_fmac_f16_e32 v33, v7, v13
	v_fmac_f16_e32 v4, v0, v14
	v_fma_f16 v0, v0, v23, -v5
	v_mul_f16_sdwa v5, v3, v30 dst_sel:DWORD dst_unused:UNUSED_PAD src0_sel:WORD_1 src1_sel:DWORD
	v_mul_f16_sdwa v10, v3, v17 dst_sel:DWORD dst_unused:UNUSED_PAD src0_sel:WORD_1 src1_sel:DWORD
	;; [unrolled: 1-line block ×4, first 2 shown]
	v_fmac_f16_e32 v32, v6, v12
	v_mul_f16_sdwa v6, v1, v24 dst_sel:DWORD dst_unused:UNUSED_PAD src0_sel:WORD_1 src1_sel:DWORD
	v_mul_f16_sdwa v12, v1, v15 dst_sel:DWORD dst_unused:UNUSED_PAD src0_sel:WORD_1 src1_sel:DWORD
	v_fmac_f16_e32 v5, v3, v17
	v_fma_f16 v3, v3, v30, -v10
	v_fmac_f16_e32 v11, v2, v16
	v_fma_f16 v2, v2, v29, -v13
	;; [unrolled: 2-line block ×3, first 2 shown]
	v_add_f16_e32 v10, v35, v5
	v_add_f16_e32 v12, v19, v3
	;; [unrolled: 1-line block ×4, first 2 shown]
	v_fma_f16 v7, v7, v22, -v34
	v_sub_f16_e32 v5, v35, v5
	v_add_f16_e32 v15, v32, v6
	v_sub_f16_e32 v3, v19, v3
	v_add_f16_e32 v17, v21, v1
	v_add_f16_e32 v35, v13, v10
	;; [unrolled: 1-line block ×3, first 2 shown]
	v_sub_f16_e32 v11, v31, v11
	v_mul_f16_e32 v16, 0x3924, v5
	v_sub_f16_e32 v2, v20, v2
	v_mul_f16_e32 v19, 0x3924, v3
	v_sub_f16_e32 v22, v33, v4
	v_sub_f16_e32 v23, v7, v0
	v_add_f16_e32 v39, v15, v35
	v_add_f16_e32 v40, v17, v36
	v_sub_f16_e32 v6, v32, v6
	v_fmac_f16_e32 v16, 0x3be1, v11
	v_sub_f16_e32 v1, v21, v1
	v_fmac_f16_e32 v19, 0x3be1, v2
	v_add_f16_e32 v24, v33, v4
	v_add_f16_e32 v29, v7, v0
	v_mul_f16_e32 v30, 0xb924, v23
	v_mul_f16_e32 v32, 0xb924, v22
	v_add_f16_e32 v33, v33, v39
	v_add_f16_e32 v7, v7, v40
	v_lshrrev_b32_e32 v18, 16, v9
	v_fmac_f16_e32 v16, 0x3aee, v6
	v_fmac_f16_e32 v19, 0x3aee, v1
	v_fmamk_f16 v31, v24, 0x3a21, v9
	v_fmac_f16_e32 v30, 0x3be1, v3
	v_fmac_f16_e32 v32, 0x3be1, v5
	v_add_f16_e32 v4, v4, v33
	v_add_f16_e32 v0, v0, v7
	v_fmamk_f16 v20, v10, 0x3a21, v9
	v_fmamk_f16 v21, v12, 0x3a21, v18
	v_fmac_f16_e32 v16, 0x3579, v22
	v_fmac_f16_e32 v19, 0x3579, v23
	v_fmamk_f16 v34, v29, 0x3a21, v18
	v_fmac_f16_e32 v31, 0x318f, v10
	v_fmac_f16_e32 v30, 0xbaee, v1
	;; [unrolled: 1-line block ×3, first 2 shown]
	v_add_f16_e32 v37, v22, v5
	v_add_f16_e32 v38, v23, v3
	;; [unrolled: 1-line block ×4, first 2 shown]
	v_mul_f16_e32 v22, 0x3be1, v22
	v_mul_f16_e32 v23, 0x3be1, v23
	v_add_f16_e32 v4, v4, v9
	v_add_f16_e32 v0, v0, v18
	v_fmac_f16_e32 v9, 0x3a21, v13
	v_fmac_f16_e32 v18, 0x3a21, v14
	v_fmac_f16_e32 v31, -0.5, v15
	v_fmac_f16_e32 v30, 0x3579, v2
	v_fmac_f16_e32 v32, 0x3579, v11
	v_sub_f16_e32 v37, v37, v11
	v_sub_f16_e32 v38, v38, v2
	v_fma_f16 v11, v11, 0xb924, -v22
	v_fma_f16 v2, v2, 0xb924, -v23
	v_fmac_f16_e32 v9, 0x318f, v24
	v_fmac_f16_e32 v18, 0x318f, v29
	;; [unrolled: 1-line block ×6, first 2 shown]
	v_add_f16_e32 v7, v24, v35
	v_add_f16_e32 v13, v29, v36
	v_fmac_f16_e32 v11, 0x3aee, v6
	v_fmac_f16_e32 v2, 0x3aee, v1
	v_fmac_f16_e32 v9, -0.5, v15
	v_fmac_f16_e32 v18, -0.5, v17
	;; [unrolled: 1-line block ×7, first 2 shown]
	v_fmac_f16_e32 v11, 0x3579, v5
	v_fmac_f16_e32 v2, 0x3579, v3
	v_fmac_f16_e32 v9, 0xbb84, v10
	v_fmac_f16_e32 v18, 0xbb84, v12
	v_fmac_f16_e32 v20, 0xbb84, v24
	v_fmac_f16_e32 v21, 0xbb84, v29
	v_fmac_f16_e32 v34, 0xbb84, v14
	v_mul_f16_e32 v39, 0x3aee, v37
	v_mul_f16_e32 v1, 0x3aee, v38
	v_fmac_f16_e32 v40, 0xbaee, v38
	v_fmac_f16_e32 v41, 0x3aee, v37
	v_sub_f16_e32 v3, v9, v2
	v_add_f16_e32 v5, v11, v18
	v_sub_f16_e32 v20, v20, v19
	v_add_f16_e32 v21, v16, v21
	;; [unrolled: 2-line block ×3, first 2 shown]
	v_fma_f16 v1, 2.0, v1, v40
	v_fma_f16 v7, -2.0, v39, v41
	v_fma_f16 v2, 2.0, v2, v3
	v_fma_f16 v9, -2.0, v11, v5
	;; [unrolled: 2-line block ×4, first 2 shown]
	v_pack_b32_f16 v0, v4, v0
	v_pack_b32_f16 v4, v20, v21
	;; [unrolled: 1-line block ×9, first 2 shown]
	v_add_nc_u32_e32 v7, 0x200, v25
	ds_write_b32 v25, v0
	ds_write2_b32 v25, v4, v10 offset0:34 offset1:68
	ds_write2_b32 v25, v11, v3 offset0:102 offset1:136
	;; [unrolled: 1-line block ×4, first 2 shown]
	s_waitcnt lgkmcnt(0)
	s_barrier
	buffer_gl0_inv
	s_and_b32 exec_lo, exec_lo, vcc_lo
	s_cbranch_execz .LBB0_23
; %bb.22:
	global_load_dword v0, v27, s[12:13]
	ds_read_b32 v1, v25
	s_mov_b32 s8, 0x1ac5701b
	s_mov_b32 s9, 0x3f6ac570
	v_mad_u64_u32 v[6:7], null, s4, v28, 0
	s_mul_hi_u32 s3, s4, 0x48
	s_waitcnt lgkmcnt(0)
	v_lshrrev_b32_e32 v2, 16, v1
	s_waitcnt vmcnt(0)
	v_mul_f16_sdwa v3, v2, v0 dst_sel:DWORD dst_unused:UNUSED_PAD src0_sel:DWORD src1_sel:WORD_1
	v_mul_f16_sdwa v4, v1, v0 dst_sel:DWORD dst_unused:UNUSED_PAD src0_sel:DWORD src1_sel:WORD_1
	v_fmac_f16_e32 v3, v1, v0
	v_fma_f16 v0, v0, v2, -v4
	v_mad_u64_u32 v[4:5], null, s6, v8, 0
	s_mul_i32 s6, s4, 0x48
	v_cvt_f32_f16_e32 v1, v3
	v_cvt_f32_f16_e32 v2, v0
	v_cvt_f64_f32_e32 v[0:1], v1
	v_cvt_f64_f32_e32 v[2:3], v2
	v_mul_f64 v[0:1], v[0:1], s[8:9]
	v_mul_f64 v[2:3], v[2:3], s[8:9]
	v_and_or_b32 v0, 0x1ff, v1, v0
	v_and_or_b32 v2, 0x1ff, v3, v2
	v_lshrrev_b32_e32 v9, 8, v1
	v_bfe_u32 v10, v1, 20, 11
	v_bfe_u32 v12, v3, 20, 11
	v_cmp_ne_u32_e32 vcc_lo, 0, v0
	v_lshrrev_b32_e32 v11, 8, v3
	v_mov_b32_e32 v0, v7
	v_sub_nc_u32_e32 v14, 0x3f1, v10
	v_sub_nc_u32_e32 v15, 0x3f1, v12
	v_cndmask_b32_e64 v13, 0, 1, vcc_lo
	v_cmp_ne_u32_e32 vcc_lo, 0, v2
	v_mad_u64_u32 v[7:8], null, s7, v8, v[5:6]
	v_add_nc_u32_e32 v10, 0xfffffc10, v10
	v_and_or_b32 v13, 0xffe, v9, v13
	v_cndmask_b32_e64 v2, 0, 1, vcc_lo
	v_mad_u64_u32 v[8:9], null, s5, v28, v[0:1]
	v_add_nc_u32_e32 v12, 0xfffffc10, v12
	v_mov_b32_e32 v5, v7
	v_and_or_b32 v2, 0xffe, v11, v2
	v_med3_i32 v11, v14, 0, 13
	v_med3_i32 v14, v15, 0, 13
	v_or_b32_e32 v15, 0x1000, v13
	v_mov_b32_e32 v7, v8
	v_or_b32_e32 v16, 0x1000, v2
	v_lshrrev_b32_e32 v1, 16, v1
	v_lshlrev_b64 v[4:5], 2, v[4:5]
	v_lshrrev_b32_e32 v0, v11, v15
	v_lshrrev_b32_e32 v3, 16, v3
	;; [unrolled: 1-line block ×3, first 2 shown]
	v_lshlrev_b64 v[6:7], 2, v[6:7]
	v_lshlrev_b32_e32 v11, v11, v0
	v_lshlrev_b32_e32 v8, v14, v9
	v_lshl_or_b32 v14, v10, 12, v13
	v_cmp_ne_u32_e32 vcc_lo, v11, v15
	v_cndmask_b32_e64 v11, 0, 1, vcc_lo
	v_cmp_ne_u32_e32 vcc_lo, v8, v16
	v_or_b32_e32 v0, v0, v11
	v_cndmask_b32_e64 v8, 0, 1, vcc_lo
	v_cmp_gt_i32_e32 vcc_lo, 1, v10
	v_lshl_or_b32 v11, v12, 12, v2
	v_or_b32_e32 v8, v9, v8
	v_cndmask_b32_e32 v0, v14, v0, vcc_lo
	v_cmp_gt_i32_e32 vcc_lo, 1, v12
	v_cndmask_b32_e32 v8, v11, v8, vcc_lo
	v_cmp_ne_u32_e32 vcc_lo, 0, v13
	v_and_b32_e32 v11, 7, v0
	v_lshrrev_b32_e32 v0, 2, v0
	v_and_b32_e32 v13, 7, v8
	v_cndmask_b32_e64 v9, 0, 1, vcc_lo
	v_cmp_ne_u32_e32 vcc_lo, 0, v2
	v_cmp_eq_u32_e64 s0, 3, v11
	v_lshrrev_b32_e32 v8, 2, v8
	v_cmp_lt_i32_e64 s1, 5, v13
	v_cmp_eq_u32_e64 s2, 3, v13
	v_cndmask_b32_e64 v2, 0, 1, vcc_lo
	v_cmp_lt_i32_e32 vcc_lo, 5, v11
	v_lshl_or_b32 v9, v9, 9, 0x7c00
	v_lshl_or_b32 v2, v2, 9, 0x7c00
	s_or_b32 vcc_lo, s0, vcc_lo
	v_add_co_ci_u32_e32 v0, vcc_lo, 0, v0, vcc_lo
	s_or_b32 vcc_lo, s2, s1
	v_add_co_ci_u32_e32 v8, vcc_lo, 0, v8, vcc_lo
	v_cmp_gt_i32_e32 vcc_lo, 31, v10
	v_cndmask_b32_e32 v0, 0x7c00, v0, vcc_lo
	v_cmp_gt_i32_e32 vcc_lo, 31, v12
	v_cndmask_b32_e32 v8, 0x7c00, v8, vcc_lo
	v_cmp_eq_u32_e32 vcc_lo, 0x40f, v10
	v_cndmask_b32_e32 v0, v0, v9, vcc_lo
	v_cmp_eq_u32_e32 vcc_lo, 0x40f, v12
	v_cndmask_b32_e32 v2, v8, v2, vcc_lo
	v_and_or_b32 v8, 0x8000, v1, v0
	v_add_co_u32 v0, vcc_lo, s14, v4
	v_add_co_ci_u32_e32 v1, vcc_lo, s15, v5, vcc_lo
	v_and_or_b32 v4, 0x8000, v3, v2
	v_and_b32_e32 v5, 0xffff, v8
	v_add_co_u32 v2, vcc_lo, v0, v6
	v_add_co_ci_u32_e32 v3, vcc_lo, v1, v7, vcc_lo
	v_lshl_or_b32 v4, v4, 16, v5
	global_store_dword v[2:3], v4, off
	global_load_dword v6, v27, s[12:13] offset:72
	ds_read2_b32 v[4:5], v25 offset0:18 offset1:36
	s_waitcnt lgkmcnt(0)
	v_lshrrev_b32_e32 v7, 16, v4
	s_waitcnt vmcnt(0)
	v_mul_f16_sdwa v8, v7, v6 dst_sel:DWORD dst_unused:UNUSED_PAD src0_sel:DWORD src1_sel:WORD_1
	v_mul_f16_sdwa v9, v4, v6 dst_sel:DWORD dst_unused:UNUSED_PAD src0_sel:DWORD src1_sel:WORD_1
	v_fmac_f16_e32 v8, v4, v6
	v_fma_f16 v4, v6, v7, -v9
	v_cvt_f32_f16_e32 v6, v8
	v_cvt_f32_f16_e32 v4, v4
	v_cvt_f64_f32_e32 v[6:7], v6
	v_cvt_f64_f32_e32 v[8:9], v4
	v_mul_f64 v[6:7], v[6:7], s[8:9]
	v_mul_f64 v[8:9], v[8:9], s[8:9]
	v_and_or_b32 v4, 0x1ff, v7, v6
	v_and_or_b32 v8, 0x1ff, v9, v8
	v_lshrrev_b32_e32 v6, 8, v7
	v_bfe_u32 v10, v7, 20, 11
	v_lshrrev_b32_e32 v11, 8, v9
	v_cmp_ne_u32_e32 vcc_lo, 0, v4
	v_bfe_u32 v12, v9, 20, 11
	v_lshrrev_b32_e32 v7, 16, v7
	v_sub_nc_u32_e32 v13, 0x3f1, v10
	v_add_nc_u32_e32 v10, 0xfffffc10, v10
	v_cndmask_b32_e64 v4, 0, 1, vcc_lo
	v_cmp_ne_u32_e32 vcc_lo, 0, v8
	v_lshrrev_b32_e32 v9, 16, v9
	v_and_or_b32 v4, 0xffe, v6, v4
	v_cndmask_b32_e64 v8, 0, 1, vcc_lo
	v_sub_nc_u32_e32 v6, 0x3f1, v12
	v_add_nc_u32_e32 v12, 0xfffffc10, v12
	v_and_or_b32 v8, 0xffe, v11, v8
	v_med3_i32 v11, v13, 0, 13
	v_or_b32_e32 v13, 0x1000, v4
	v_med3_i32 v6, v6, 0, 13
	v_or_b32_e32 v14, 0x1000, v8
	v_lshrrev_b32_e32 v15, v11, v13
	v_lshrrev_b32_e32 v16, v6, v14
	v_lshlrev_b32_e32 v11, v11, v15
	v_lshlrev_b32_e32 v6, v6, v16
	v_cmp_ne_u32_e32 vcc_lo, v11, v13
	v_lshl_or_b32 v13, v10, 12, v4
	v_cndmask_b32_e64 v11, 0, 1, vcc_lo
	v_cmp_ne_u32_e32 vcc_lo, v6, v14
	v_lshl_or_b32 v14, v12, 12, v8
	v_or_b32_e32 v11, v15, v11
	v_cndmask_b32_e64 v6, 0, 1, vcc_lo
	v_cmp_gt_i32_e32 vcc_lo, 1, v10
	v_or_b32_e32 v6, v16, v6
	v_cndmask_b32_e32 v11, v13, v11, vcc_lo
	v_cmp_gt_i32_e32 vcc_lo, 1, v12
	v_and_b32_e32 v13, 7, v11
	v_cndmask_b32_e32 v6, v14, v6, vcc_lo
	v_cmp_ne_u32_e32 vcc_lo, 0, v4
	v_lshrrev_b32_e32 v11, 2, v11
	v_cmp_eq_u32_e64 s0, 3, v13
	v_and_b32_e32 v14, 7, v6
	v_cndmask_b32_e64 v4, 0, 1, vcc_lo
	v_cmp_ne_u32_e32 vcc_lo, 0, v8
	v_lshrrev_b32_e32 v6, 2, v6
	v_cmp_lt_i32_e64 s1, 5, v14
	v_cmp_eq_u32_e64 s2, 3, v14
	v_cndmask_b32_e64 v8, 0, 1, vcc_lo
	v_cmp_lt_i32_e32 vcc_lo, 5, v13
	v_lshl_or_b32 v4, v4, 9, 0x7c00
	v_lshl_or_b32 v8, v8, 9, 0x7c00
	s_or_b32 vcc_lo, s0, vcc_lo
	s_mul_i32 s0, s5, 0x48
	v_add_co_ci_u32_e32 v11, vcc_lo, 0, v11, vcc_lo
	s_or_b32 vcc_lo, s2, s1
	s_add_i32 s3, s3, s0
	v_add_co_ci_u32_e32 v6, vcc_lo, 0, v6, vcc_lo
	v_cmp_gt_i32_e32 vcc_lo, 31, v10
	v_cndmask_b32_e32 v11, 0x7c00, v11, vcc_lo
	v_cmp_gt_i32_e32 vcc_lo, 31, v12
	v_cndmask_b32_e32 v6, 0x7c00, v6, vcc_lo
	v_cmp_eq_u32_e32 vcc_lo, 0x40f, v10
	v_cndmask_b32_e32 v4, v11, v4, vcc_lo
	v_cmp_eq_u32_e32 vcc_lo, 0x40f, v12
	v_and_or_b32 v4, 0x8000, v7, v4
	v_cndmask_b32_e32 v6, v6, v8, vcc_lo
	v_add_co_u32 v2, vcc_lo, v2, s6
	v_add_co_ci_u32_e32 v3, vcc_lo, s3, v3, vcc_lo
	v_and_or_b32 v6, 0x8000, v9, v6
	v_and_b32_e32 v4, 0xffff, v4
	v_lshl_or_b32 v4, v6, 16, v4
	v_lshrrev_b32_e32 v6, 16, v5
	global_store_dword v[2:3], v4, off
	global_load_dword v4, v27, s[12:13] offset:144
	s_waitcnt vmcnt(0)
	v_mul_f16_sdwa v7, v6, v4 dst_sel:DWORD dst_unused:UNUSED_PAD src0_sel:DWORD src1_sel:WORD_1
	v_mul_f16_sdwa v8, v5, v4 dst_sel:DWORD dst_unused:UNUSED_PAD src0_sel:DWORD src1_sel:WORD_1
	v_fmac_f16_e32 v7, v5, v4
	v_fma_f16 v4, v4, v6, -v8
	v_cvt_f32_f16_e32 v5, v7
	v_cvt_f32_f16_e32 v6, v4
	v_cvt_f64_f32_e32 v[4:5], v5
	v_cvt_f64_f32_e32 v[6:7], v6
	v_mul_f64 v[4:5], v[4:5], s[8:9]
	v_mul_f64 v[6:7], v[6:7], s[8:9]
	v_and_or_b32 v4, 0x1ff, v5, v4
	v_and_or_b32 v6, 0x1ff, v7, v6
	v_lshrrev_b32_e32 v8, 8, v5
	v_bfe_u32 v9, v5, 20, 11
	v_lshrrev_b32_e32 v10, 8, v7
	v_cmp_ne_u32_e32 vcc_lo, 0, v4
	v_bfe_u32 v11, v7, 20, 11
	v_lshrrev_b32_e32 v5, 16, v5
	v_sub_nc_u32_e32 v12, 0x3f1, v9
	v_add_nc_u32_e32 v9, 0xfffffc10, v9
	v_cndmask_b32_e64 v4, 0, 1, vcc_lo
	v_cmp_ne_u32_e32 vcc_lo, 0, v6
	v_lshrrev_b32_e32 v7, 16, v7
	v_and_or_b32 v4, 0xffe, v8, v4
	v_cndmask_b32_e64 v6, 0, 1, vcc_lo
	v_sub_nc_u32_e32 v8, 0x3f1, v11
	v_add_nc_u32_e32 v11, 0xfffffc10, v11
	v_and_or_b32 v6, 0xffe, v10, v6
	v_med3_i32 v10, v12, 0, 13
	v_or_b32_e32 v12, 0x1000, v4
	v_med3_i32 v8, v8, 0, 13
	v_or_b32_e32 v13, 0x1000, v6
	v_lshrrev_b32_e32 v14, v10, v12
	v_lshrrev_b32_e32 v15, v8, v13
	v_lshlrev_b32_e32 v10, v10, v14
	v_lshlrev_b32_e32 v8, v8, v15
	v_cmp_ne_u32_e32 vcc_lo, v10, v12
	v_lshl_or_b32 v12, v9, 12, v4
	v_cndmask_b32_e64 v10, 0, 1, vcc_lo
	v_cmp_ne_u32_e32 vcc_lo, v8, v13
	v_lshl_or_b32 v13, v11, 12, v6
	v_or_b32_e32 v10, v14, v10
	v_cndmask_b32_e64 v8, 0, 1, vcc_lo
	v_cmp_gt_i32_e32 vcc_lo, 1, v9
	v_or_b32_e32 v8, v15, v8
	v_cndmask_b32_e32 v10, v12, v10, vcc_lo
	v_cmp_gt_i32_e32 vcc_lo, 1, v11
	v_and_b32_e32 v12, 7, v10
	v_cndmask_b32_e32 v8, v13, v8, vcc_lo
	v_cmp_ne_u32_e32 vcc_lo, 0, v4
	v_lshrrev_b32_e32 v10, 2, v10
	v_cmp_eq_u32_e64 s0, 3, v12
	v_and_b32_e32 v13, 7, v8
	v_cndmask_b32_e64 v4, 0, 1, vcc_lo
	v_cmp_ne_u32_e32 vcc_lo, 0, v6
	v_lshrrev_b32_e32 v8, 2, v8
	v_cmp_lt_i32_e64 s1, 5, v13
	v_cmp_eq_u32_e64 s2, 3, v13
	v_cndmask_b32_e64 v6, 0, 1, vcc_lo
	v_cmp_lt_i32_e32 vcc_lo, 5, v12
	v_lshl_or_b32 v4, v4, 9, 0x7c00
	v_lshl_or_b32 v6, v6, 9, 0x7c00
	s_or_b32 vcc_lo, s0, vcc_lo
	v_add_co_ci_u32_e32 v10, vcc_lo, 0, v10, vcc_lo
	s_or_b32 vcc_lo, s2, s1
	v_add_co_ci_u32_e32 v8, vcc_lo, 0, v8, vcc_lo
	v_cmp_gt_i32_e32 vcc_lo, 31, v9
	v_cndmask_b32_e32 v10, 0x7c00, v10, vcc_lo
	v_cmp_gt_i32_e32 vcc_lo, 31, v11
	v_cndmask_b32_e32 v8, 0x7c00, v8, vcc_lo
	v_cmp_eq_u32_e32 vcc_lo, 0x40f, v9
	v_cndmask_b32_e32 v4, v10, v4, vcc_lo
	v_cmp_eq_u32_e32 vcc_lo, 0x40f, v11
	v_and_or_b32 v4, 0x8000, v5, v4
	v_cndmask_b32_e32 v6, v8, v6, vcc_lo
	v_add_co_u32 v2, vcc_lo, v2, s6
	v_add_co_ci_u32_e32 v3, vcc_lo, s3, v3, vcc_lo
	v_and_or_b32 v5, 0x8000, v7, v6
	v_and_b32_e32 v4, 0xffff, v4
	v_lshl_or_b32 v4, v5, 16, v4
	global_store_dword v[2:3], v4, off
	global_load_dword v6, v27, s[12:13] offset:216
	ds_read2_b32 v[4:5], v25 offset0:54 offset1:72
	s_waitcnt lgkmcnt(0)
	v_lshrrev_b32_e32 v7, 16, v4
	s_waitcnt vmcnt(0)
	v_mul_f16_sdwa v8, v7, v6 dst_sel:DWORD dst_unused:UNUSED_PAD src0_sel:DWORD src1_sel:WORD_1
	v_mul_f16_sdwa v9, v4, v6 dst_sel:DWORD dst_unused:UNUSED_PAD src0_sel:DWORD src1_sel:WORD_1
	v_fmac_f16_e32 v8, v4, v6
	v_fma_f16 v4, v6, v7, -v9
	v_cvt_f32_f16_e32 v6, v8
	v_cvt_f32_f16_e32 v4, v4
	v_cvt_f64_f32_e32 v[6:7], v6
	v_cvt_f64_f32_e32 v[8:9], v4
	v_mul_f64 v[6:7], v[6:7], s[8:9]
	v_mul_f64 v[8:9], v[8:9], s[8:9]
	v_and_or_b32 v4, 0x1ff, v7, v6
	v_and_or_b32 v8, 0x1ff, v9, v8
	v_lshrrev_b32_e32 v6, 8, v7
	v_bfe_u32 v10, v7, 20, 11
	v_lshrrev_b32_e32 v11, 8, v9
	v_cmp_ne_u32_e32 vcc_lo, 0, v4
	v_bfe_u32 v12, v9, 20, 11
	v_lshrrev_b32_e32 v7, 16, v7
	v_sub_nc_u32_e32 v13, 0x3f1, v10
	v_add_nc_u32_e32 v10, 0xfffffc10, v10
	v_cndmask_b32_e64 v4, 0, 1, vcc_lo
	v_cmp_ne_u32_e32 vcc_lo, 0, v8
	v_lshrrev_b32_e32 v9, 16, v9
	v_and_or_b32 v4, 0xffe, v6, v4
	v_cndmask_b32_e64 v8, 0, 1, vcc_lo
	v_sub_nc_u32_e32 v6, 0x3f1, v12
	v_add_nc_u32_e32 v12, 0xfffffc10, v12
	v_and_or_b32 v8, 0xffe, v11, v8
	v_med3_i32 v11, v13, 0, 13
	v_or_b32_e32 v13, 0x1000, v4
	v_med3_i32 v6, v6, 0, 13
	v_or_b32_e32 v14, 0x1000, v8
	v_lshrrev_b32_e32 v15, v11, v13
	v_lshrrev_b32_e32 v16, v6, v14
	v_lshlrev_b32_e32 v11, v11, v15
	v_lshlrev_b32_e32 v6, v6, v16
	v_cmp_ne_u32_e32 vcc_lo, v11, v13
	v_lshl_or_b32 v13, v10, 12, v4
	v_cndmask_b32_e64 v11, 0, 1, vcc_lo
	v_cmp_ne_u32_e32 vcc_lo, v6, v14
	v_lshl_or_b32 v14, v12, 12, v8
	v_or_b32_e32 v11, v15, v11
	v_cndmask_b32_e64 v6, 0, 1, vcc_lo
	v_cmp_gt_i32_e32 vcc_lo, 1, v10
	v_or_b32_e32 v6, v16, v6
	v_cndmask_b32_e32 v11, v13, v11, vcc_lo
	v_cmp_gt_i32_e32 vcc_lo, 1, v12
	v_and_b32_e32 v13, 7, v11
	v_cndmask_b32_e32 v6, v14, v6, vcc_lo
	v_cmp_ne_u32_e32 vcc_lo, 0, v4
	v_lshrrev_b32_e32 v11, 2, v11
	v_cmp_eq_u32_e64 s0, 3, v13
	v_and_b32_e32 v14, 7, v6
	v_cndmask_b32_e64 v4, 0, 1, vcc_lo
	v_cmp_ne_u32_e32 vcc_lo, 0, v8
	v_lshrrev_b32_e32 v6, 2, v6
	v_cmp_lt_i32_e64 s1, 5, v14
	v_cmp_eq_u32_e64 s2, 3, v14
	v_cndmask_b32_e64 v8, 0, 1, vcc_lo
	v_cmp_lt_i32_e32 vcc_lo, 5, v13
	v_lshl_or_b32 v4, v4, 9, 0x7c00
	v_lshl_or_b32 v8, v8, 9, 0x7c00
	s_or_b32 vcc_lo, s0, vcc_lo
	v_add_co_ci_u32_e32 v11, vcc_lo, 0, v11, vcc_lo
	s_or_b32 vcc_lo, s2, s1
	v_add_co_ci_u32_e32 v6, vcc_lo, 0, v6, vcc_lo
	v_cmp_gt_i32_e32 vcc_lo, 31, v10
	v_cndmask_b32_e32 v11, 0x7c00, v11, vcc_lo
	v_cmp_gt_i32_e32 vcc_lo, 31, v12
	v_cndmask_b32_e32 v6, 0x7c00, v6, vcc_lo
	v_cmp_eq_u32_e32 vcc_lo, 0x40f, v10
	v_cndmask_b32_e32 v4, v11, v4, vcc_lo
	v_cmp_eq_u32_e32 vcc_lo, 0x40f, v12
	v_and_or_b32 v4, 0x8000, v7, v4
	v_cndmask_b32_e32 v6, v6, v8, vcc_lo
	v_add_co_u32 v2, vcc_lo, v2, s6
	v_add_co_ci_u32_e32 v3, vcc_lo, s3, v3, vcc_lo
	v_and_or_b32 v6, 0x8000, v9, v6
	v_and_b32_e32 v4, 0xffff, v4
	v_lshl_or_b32 v4, v6, 16, v4
	v_lshrrev_b32_e32 v6, 16, v5
	global_store_dword v[2:3], v4, off
	global_load_dword v4, v27, s[12:13] offset:288
	s_waitcnt vmcnt(0)
	v_mul_f16_sdwa v7, v6, v4 dst_sel:DWORD dst_unused:UNUSED_PAD src0_sel:DWORD src1_sel:WORD_1
	v_mul_f16_sdwa v8, v5, v4 dst_sel:DWORD dst_unused:UNUSED_PAD src0_sel:DWORD src1_sel:WORD_1
	v_fmac_f16_e32 v7, v5, v4
	v_fma_f16 v4, v4, v6, -v8
	v_cvt_f32_f16_e32 v5, v7
	v_cvt_f32_f16_e32 v6, v4
	v_cvt_f64_f32_e32 v[4:5], v5
	v_cvt_f64_f32_e32 v[6:7], v6
	v_mul_f64 v[4:5], v[4:5], s[8:9]
	v_mul_f64 v[6:7], v[6:7], s[8:9]
	v_and_or_b32 v4, 0x1ff, v5, v4
	v_and_or_b32 v6, 0x1ff, v7, v6
	v_lshrrev_b32_e32 v8, 8, v5
	v_bfe_u32 v9, v5, 20, 11
	v_lshrrev_b32_e32 v10, 8, v7
	v_cmp_ne_u32_e32 vcc_lo, 0, v4
	v_bfe_u32 v11, v7, 20, 11
	v_lshrrev_b32_e32 v5, 16, v5
	v_sub_nc_u32_e32 v12, 0x3f1, v9
	v_add_nc_u32_e32 v9, 0xfffffc10, v9
	v_cndmask_b32_e64 v4, 0, 1, vcc_lo
	v_cmp_ne_u32_e32 vcc_lo, 0, v6
	v_lshrrev_b32_e32 v7, 16, v7
	v_and_or_b32 v4, 0xffe, v8, v4
	v_cndmask_b32_e64 v6, 0, 1, vcc_lo
	v_sub_nc_u32_e32 v8, 0x3f1, v11
	v_add_nc_u32_e32 v11, 0xfffffc10, v11
	v_and_or_b32 v6, 0xffe, v10, v6
	v_med3_i32 v10, v12, 0, 13
	v_or_b32_e32 v12, 0x1000, v4
	v_med3_i32 v8, v8, 0, 13
	v_or_b32_e32 v13, 0x1000, v6
	v_lshrrev_b32_e32 v14, v10, v12
	v_lshrrev_b32_e32 v15, v8, v13
	v_lshlrev_b32_e32 v10, v10, v14
	v_lshlrev_b32_e32 v8, v8, v15
	v_cmp_ne_u32_e32 vcc_lo, v10, v12
	v_lshl_or_b32 v12, v9, 12, v4
	v_cndmask_b32_e64 v10, 0, 1, vcc_lo
	v_cmp_ne_u32_e32 vcc_lo, v8, v13
	v_lshl_or_b32 v13, v11, 12, v6
	v_or_b32_e32 v10, v14, v10
	v_cndmask_b32_e64 v8, 0, 1, vcc_lo
	v_cmp_gt_i32_e32 vcc_lo, 1, v9
	v_or_b32_e32 v8, v15, v8
	v_cndmask_b32_e32 v10, v12, v10, vcc_lo
	v_cmp_gt_i32_e32 vcc_lo, 1, v11
	v_and_b32_e32 v12, 7, v10
	v_cndmask_b32_e32 v8, v13, v8, vcc_lo
	v_cmp_ne_u32_e32 vcc_lo, 0, v4
	v_lshrrev_b32_e32 v10, 2, v10
	v_cmp_eq_u32_e64 s0, 3, v12
	v_and_b32_e32 v13, 7, v8
	v_cndmask_b32_e64 v4, 0, 1, vcc_lo
	v_cmp_ne_u32_e32 vcc_lo, 0, v6
	v_lshrrev_b32_e32 v8, 2, v8
	v_cmp_lt_i32_e64 s1, 5, v13
	v_cmp_eq_u32_e64 s2, 3, v13
	v_cndmask_b32_e64 v6, 0, 1, vcc_lo
	v_cmp_lt_i32_e32 vcc_lo, 5, v12
	v_lshl_or_b32 v4, v4, 9, 0x7c00
	v_lshl_or_b32 v6, v6, 9, 0x7c00
	s_or_b32 vcc_lo, s0, vcc_lo
	v_add_co_ci_u32_e32 v10, vcc_lo, 0, v10, vcc_lo
	s_or_b32 vcc_lo, s2, s1
	v_add_co_ci_u32_e32 v8, vcc_lo, 0, v8, vcc_lo
	v_cmp_gt_i32_e32 vcc_lo, 31, v9
	v_cndmask_b32_e32 v10, 0x7c00, v10, vcc_lo
	v_cmp_gt_i32_e32 vcc_lo, 31, v11
	v_cndmask_b32_e32 v8, 0x7c00, v8, vcc_lo
	v_cmp_eq_u32_e32 vcc_lo, 0x40f, v9
	v_cndmask_b32_e32 v4, v10, v4, vcc_lo
	v_cmp_eq_u32_e32 vcc_lo, 0x40f, v11
	v_and_or_b32 v4, 0x8000, v5, v4
	v_cndmask_b32_e32 v6, v8, v6, vcc_lo
	v_add_co_u32 v2, vcc_lo, v2, s6
	v_add_co_ci_u32_e32 v3, vcc_lo, s3, v3, vcc_lo
	v_and_or_b32 v5, 0x8000, v7, v6
	v_and_b32_e32 v4, 0xffff, v4
	v_lshl_or_b32 v4, v5, 16, v4
	global_store_dword v[2:3], v4, off
	global_load_dword v6, v27, s[12:13] offset:360
	ds_read2_b32 v[4:5], v25 offset0:90 offset1:108
	s_waitcnt lgkmcnt(0)
	v_lshrrev_b32_e32 v7, 16, v4
	s_waitcnt vmcnt(0)
	v_mul_f16_sdwa v8, v7, v6 dst_sel:DWORD dst_unused:UNUSED_PAD src0_sel:DWORD src1_sel:WORD_1
	v_mul_f16_sdwa v9, v4, v6 dst_sel:DWORD dst_unused:UNUSED_PAD src0_sel:DWORD src1_sel:WORD_1
	v_fmac_f16_e32 v8, v4, v6
	v_fma_f16 v4, v6, v7, -v9
	v_cvt_f32_f16_e32 v6, v8
	v_cvt_f32_f16_e32 v4, v4
	v_cvt_f64_f32_e32 v[6:7], v6
	v_cvt_f64_f32_e32 v[8:9], v4
	v_mul_f64 v[6:7], v[6:7], s[8:9]
	v_mul_f64 v[8:9], v[8:9], s[8:9]
	v_and_or_b32 v4, 0x1ff, v7, v6
	v_and_or_b32 v8, 0x1ff, v9, v8
	v_lshrrev_b32_e32 v6, 8, v7
	v_bfe_u32 v10, v7, 20, 11
	v_lshrrev_b32_e32 v11, 8, v9
	v_cmp_ne_u32_e32 vcc_lo, 0, v4
	v_bfe_u32 v12, v9, 20, 11
	v_lshrrev_b32_e32 v7, 16, v7
	v_sub_nc_u32_e32 v13, 0x3f1, v10
	v_add_nc_u32_e32 v10, 0xfffffc10, v10
	v_cndmask_b32_e64 v4, 0, 1, vcc_lo
	v_cmp_ne_u32_e32 vcc_lo, 0, v8
	v_lshrrev_b32_e32 v9, 16, v9
	v_and_or_b32 v4, 0xffe, v6, v4
	v_cndmask_b32_e64 v8, 0, 1, vcc_lo
	v_sub_nc_u32_e32 v6, 0x3f1, v12
	v_add_nc_u32_e32 v12, 0xfffffc10, v12
	v_and_or_b32 v8, 0xffe, v11, v8
	v_med3_i32 v11, v13, 0, 13
	v_or_b32_e32 v13, 0x1000, v4
	v_med3_i32 v6, v6, 0, 13
	v_or_b32_e32 v14, 0x1000, v8
	v_lshrrev_b32_e32 v15, v11, v13
	v_lshrrev_b32_e32 v16, v6, v14
	v_lshlrev_b32_e32 v11, v11, v15
	v_lshlrev_b32_e32 v6, v6, v16
	v_cmp_ne_u32_e32 vcc_lo, v11, v13
	v_lshl_or_b32 v13, v10, 12, v4
	v_cndmask_b32_e64 v11, 0, 1, vcc_lo
	v_cmp_ne_u32_e32 vcc_lo, v6, v14
	v_lshl_or_b32 v14, v12, 12, v8
	v_or_b32_e32 v11, v15, v11
	v_cndmask_b32_e64 v6, 0, 1, vcc_lo
	v_cmp_gt_i32_e32 vcc_lo, 1, v10
	v_or_b32_e32 v6, v16, v6
	v_cndmask_b32_e32 v11, v13, v11, vcc_lo
	v_cmp_gt_i32_e32 vcc_lo, 1, v12
	v_and_b32_e32 v13, 7, v11
	v_cndmask_b32_e32 v6, v14, v6, vcc_lo
	v_cmp_ne_u32_e32 vcc_lo, 0, v4
	v_lshrrev_b32_e32 v11, 2, v11
	v_cmp_eq_u32_e64 s0, 3, v13
	v_and_b32_e32 v14, 7, v6
	v_cndmask_b32_e64 v4, 0, 1, vcc_lo
	v_cmp_ne_u32_e32 vcc_lo, 0, v8
	v_lshrrev_b32_e32 v6, 2, v6
	v_cmp_lt_i32_e64 s1, 5, v14
	v_cmp_eq_u32_e64 s2, 3, v14
	v_cndmask_b32_e64 v8, 0, 1, vcc_lo
	v_cmp_lt_i32_e32 vcc_lo, 5, v13
	v_lshl_or_b32 v4, v4, 9, 0x7c00
	v_lshl_or_b32 v8, v8, 9, 0x7c00
	s_or_b32 vcc_lo, s0, vcc_lo
	v_add_co_ci_u32_e32 v11, vcc_lo, 0, v11, vcc_lo
	s_or_b32 vcc_lo, s2, s1
	v_add_co_ci_u32_e32 v6, vcc_lo, 0, v6, vcc_lo
	v_cmp_gt_i32_e32 vcc_lo, 31, v10
	v_cndmask_b32_e32 v11, 0x7c00, v11, vcc_lo
	v_cmp_gt_i32_e32 vcc_lo, 31, v12
	v_cndmask_b32_e32 v6, 0x7c00, v6, vcc_lo
	v_cmp_eq_u32_e32 vcc_lo, 0x40f, v10
	v_cndmask_b32_e32 v4, v11, v4, vcc_lo
	v_cmp_eq_u32_e32 vcc_lo, 0x40f, v12
	v_and_or_b32 v4, 0x8000, v7, v4
	v_cndmask_b32_e32 v6, v6, v8, vcc_lo
	v_add_co_u32 v2, vcc_lo, v2, s6
	v_add_co_ci_u32_e32 v3, vcc_lo, s3, v3, vcc_lo
	v_and_or_b32 v6, 0x8000, v9, v6
	v_and_b32_e32 v4, 0xffff, v4
	v_lshl_or_b32 v4, v6, 16, v4
	v_lshrrev_b32_e32 v6, 16, v5
	global_store_dword v[2:3], v4, off
	global_load_dword v4, v27, s[12:13] offset:432
	s_waitcnt vmcnt(0)
	v_mul_f16_sdwa v7, v6, v4 dst_sel:DWORD dst_unused:UNUSED_PAD src0_sel:DWORD src1_sel:WORD_1
	v_mul_f16_sdwa v8, v5, v4 dst_sel:DWORD dst_unused:UNUSED_PAD src0_sel:DWORD src1_sel:WORD_1
	v_fmac_f16_e32 v7, v5, v4
	v_fma_f16 v4, v4, v6, -v8
	v_cvt_f32_f16_e32 v5, v7
	v_cvt_f32_f16_e32 v6, v4
	v_cvt_f64_f32_e32 v[4:5], v5
	v_cvt_f64_f32_e32 v[6:7], v6
	v_mul_f64 v[4:5], v[4:5], s[8:9]
	v_mul_f64 v[6:7], v[6:7], s[8:9]
	v_and_or_b32 v4, 0x1ff, v5, v4
	v_and_or_b32 v6, 0x1ff, v7, v6
	v_lshrrev_b32_e32 v8, 8, v5
	v_bfe_u32 v9, v5, 20, 11
	v_lshrrev_b32_e32 v10, 8, v7
	v_cmp_ne_u32_e32 vcc_lo, 0, v4
	v_bfe_u32 v11, v7, 20, 11
	v_lshrrev_b32_e32 v5, 16, v5
	v_sub_nc_u32_e32 v12, 0x3f1, v9
	v_add_nc_u32_e32 v9, 0xfffffc10, v9
	v_cndmask_b32_e64 v4, 0, 1, vcc_lo
	v_cmp_ne_u32_e32 vcc_lo, 0, v6
	v_lshrrev_b32_e32 v7, 16, v7
	v_and_or_b32 v4, 0xffe, v8, v4
	v_cndmask_b32_e64 v6, 0, 1, vcc_lo
	v_sub_nc_u32_e32 v8, 0x3f1, v11
	v_add_nc_u32_e32 v11, 0xfffffc10, v11
	v_and_or_b32 v6, 0xffe, v10, v6
	v_med3_i32 v10, v12, 0, 13
	v_or_b32_e32 v12, 0x1000, v4
	v_med3_i32 v8, v8, 0, 13
	v_or_b32_e32 v13, 0x1000, v6
	v_lshrrev_b32_e32 v14, v10, v12
	v_lshrrev_b32_e32 v15, v8, v13
	v_lshlrev_b32_e32 v10, v10, v14
	v_lshlrev_b32_e32 v8, v8, v15
	v_cmp_ne_u32_e32 vcc_lo, v10, v12
	v_lshl_or_b32 v12, v9, 12, v4
	v_cndmask_b32_e64 v10, 0, 1, vcc_lo
	v_cmp_ne_u32_e32 vcc_lo, v8, v13
	v_lshl_or_b32 v13, v11, 12, v6
	v_or_b32_e32 v10, v14, v10
	v_cndmask_b32_e64 v8, 0, 1, vcc_lo
	v_cmp_gt_i32_e32 vcc_lo, 1, v9
	v_or_b32_e32 v8, v15, v8
	v_cndmask_b32_e32 v10, v12, v10, vcc_lo
	v_cmp_gt_i32_e32 vcc_lo, 1, v11
	v_and_b32_e32 v12, 7, v10
	v_cndmask_b32_e32 v8, v13, v8, vcc_lo
	v_cmp_ne_u32_e32 vcc_lo, 0, v4
	v_lshrrev_b32_e32 v10, 2, v10
	v_cmp_eq_u32_e64 s0, 3, v12
	v_and_b32_e32 v13, 7, v8
	v_cndmask_b32_e64 v4, 0, 1, vcc_lo
	v_cmp_ne_u32_e32 vcc_lo, 0, v6
	v_lshrrev_b32_e32 v8, 2, v8
	v_cmp_lt_i32_e64 s1, 5, v13
	v_cmp_eq_u32_e64 s2, 3, v13
	v_cndmask_b32_e64 v6, 0, 1, vcc_lo
	v_cmp_lt_i32_e32 vcc_lo, 5, v12
	v_lshl_or_b32 v4, v4, 9, 0x7c00
	v_lshl_or_b32 v6, v6, 9, 0x7c00
	s_or_b32 vcc_lo, s0, vcc_lo
	v_add_co_ci_u32_e32 v10, vcc_lo, 0, v10, vcc_lo
	s_or_b32 vcc_lo, s2, s1
	v_add_co_ci_u32_e32 v8, vcc_lo, 0, v8, vcc_lo
	v_cmp_gt_i32_e32 vcc_lo, 31, v9
	v_cndmask_b32_e32 v10, 0x7c00, v10, vcc_lo
	v_cmp_gt_i32_e32 vcc_lo, 31, v11
	v_cndmask_b32_e32 v8, 0x7c00, v8, vcc_lo
	v_cmp_eq_u32_e32 vcc_lo, 0x40f, v9
	v_cndmask_b32_e32 v4, v10, v4, vcc_lo
	v_cmp_eq_u32_e32 vcc_lo, 0x40f, v11
	v_and_or_b32 v4, 0x8000, v5, v4
	v_cndmask_b32_e32 v6, v8, v6, vcc_lo
	v_add_co_u32 v2, vcc_lo, v2, s6
	v_add_co_ci_u32_e32 v3, vcc_lo, s3, v3, vcc_lo
	v_and_or_b32 v5, 0x8000, v7, v6
	v_and_b32_e32 v4, 0xffff, v4
	v_lshl_or_b32 v4, v5, 16, v4
	global_store_dword v[2:3], v4, off
	global_load_dword v6, v27, s[12:13] offset:504
	ds_read2_b32 v[4:5], v25 offset0:126 offset1:144
	s_waitcnt lgkmcnt(0)
	v_lshrrev_b32_e32 v7, 16, v4
	s_waitcnt vmcnt(0)
	v_mul_f16_sdwa v8, v7, v6 dst_sel:DWORD dst_unused:UNUSED_PAD src0_sel:DWORD src1_sel:WORD_1
	v_mul_f16_sdwa v9, v4, v6 dst_sel:DWORD dst_unused:UNUSED_PAD src0_sel:DWORD src1_sel:WORD_1
	v_fmac_f16_e32 v8, v4, v6
	v_fma_f16 v4, v6, v7, -v9
	v_cvt_f32_f16_e32 v6, v8
	v_cvt_f32_f16_e32 v4, v4
	v_cvt_f64_f32_e32 v[6:7], v6
	v_cvt_f64_f32_e32 v[8:9], v4
	v_mul_f64 v[6:7], v[6:7], s[8:9]
	v_mul_f64 v[8:9], v[8:9], s[8:9]
	v_and_or_b32 v4, 0x1ff, v7, v6
	v_and_or_b32 v8, 0x1ff, v9, v8
	v_lshrrev_b32_e32 v6, 8, v7
	v_bfe_u32 v10, v7, 20, 11
	v_lshrrev_b32_e32 v11, 8, v9
	v_cmp_ne_u32_e32 vcc_lo, 0, v4
	v_bfe_u32 v12, v9, 20, 11
	v_lshrrev_b32_e32 v7, 16, v7
	v_sub_nc_u32_e32 v13, 0x3f1, v10
	v_add_nc_u32_e32 v10, 0xfffffc10, v10
	v_cndmask_b32_e64 v4, 0, 1, vcc_lo
	v_cmp_ne_u32_e32 vcc_lo, 0, v8
	v_lshrrev_b32_e32 v9, 16, v9
	v_and_or_b32 v4, 0xffe, v6, v4
	v_cndmask_b32_e64 v8, 0, 1, vcc_lo
	v_sub_nc_u32_e32 v6, 0x3f1, v12
	v_add_nc_u32_e32 v12, 0xfffffc10, v12
	v_and_or_b32 v8, 0xffe, v11, v8
	v_med3_i32 v11, v13, 0, 13
	v_or_b32_e32 v13, 0x1000, v4
	v_med3_i32 v6, v6, 0, 13
	v_or_b32_e32 v14, 0x1000, v8
	v_lshrrev_b32_e32 v15, v11, v13
	v_lshrrev_b32_e32 v16, v6, v14
	v_lshlrev_b32_e32 v11, v11, v15
	v_lshlrev_b32_e32 v6, v6, v16
	v_cmp_ne_u32_e32 vcc_lo, v11, v13
	v_lshl_or_b32 v13, v10, 12, v4
	v_cndmask_b32_e64 v11, 0, 1, vcc_lo
	v_cmp_ne_u32_e32 vcc_lo, v6, v14
	v_lshl_or_b32 v14, v12, 12, v8
	v_or_b32_e32 v11, v15, v11
	v_cndmask_b32_e64 v6, 0, 1, vcc_lo
	v_cmp_gt_i32_e32 vcc_lo, 1, v10
	v_or_b32_e32 v6, v16, v6
	v_cndmask_b32_e32 v11, v13, v11, vcc_lo
	v_cmp_gt_i32_e32 vcc_lo, 1, v12
	v_and_b32_e32 v13, 7, v11
	v_cndmask_b32_e32 v6, v14, v6, vcc_lo
	v_cmp_ne_u32_e32 vcc_lo, 0, v4
	v_lshrrev_b32_e32 v11, 2, v11
	v_cmp_eq_u32_e64 s0, 3, v13
	v_and_b32_e32 v14, 7, v6
	v_cndmask_b32_e64 v4, 0, 1, vcc_lo
	v_cmp_ne_u32_e32 vcc_lo, 0, v8
	v_lshrrev_b32_e32 v6, 2, v6
	v_cmp_lt_i32_e64 s1, 5, v14
	v_cmp_eq_u32_e64 s2, 3, v14
	v_cndmask_b32_e64 v8, 0, 1, vcc_lo
	v_cmp_lt_i32_e32 vcc_lo, 5, v13
	v_lshl_or_b32 v4, v4, 9, 0x7c00
	v_lshl_or_b32 v8, v8, 9, 0x7c00
	s_or_b32 vcc_lo, s0, vcc_lo
	v_add_co_ci_u32_e32 v11, vcc_lo, 0, v11, vcc_lo
	s_or_b32 vcc_lo, s2, s1
	v_add_co_ci_u32_e32 v6, vcc_lo, 0, v6, vcc_lo
	v_cmp_gt_i32_e32 vcc_lo, 31, v10
	v_cndmask_b32_e32 v11, 0x7c00, v11, vcc_lo
	v_cmp_gt_i32_e32 vcc_lo, 31, v12
	v_cndmask_b32_e32 v6, 0x7c00, v6, vcc_lo
	v_cmp_eq_u32_e32 vcc_lo, 0x40f, v10
	v_cndmask_b32_e32 v4, v11, v4, vcc_lo
	v_cmp_eq_u32_e32 vcc_lo, 0x40f, v12
	v_and_or_b32 v4, 0x8000, v7, v4
	v_cndmask_b32_e32 v6, v6, v8, vcc_lo
	v_add_co_u32 v2, vcc_lo, v2, s6
	v_add_co_ci_u32_e32 v3, vcc_lo, s3, v3, vcc_lo
	v_and_or_b32 v6, 0x8000, v9, v6
	v_and_b32_e32 v4, 0xffff, v4
	v_lshl_or_b32 v4, v6, 16, v4
	v_lshrrev_b32_e32 v6, 16, v5
	global_store_dword v[2:3], v4, off
	global_load_dword v4, v27, s[12:13] offset:576
	s_waitcnt vmcnt(0)
	v_mul_f16_sdwa v7, v6, v4 dst_sel:DWORD dst_unused:UNUSED_PAD src0_sel:DWORD src1_sel:WORD_1
	v_mul_f16_sdwa v8, v5, v4 dst_sel:DWORD dst_unused:UNUSED_PAD src0_sel:DWORD src1_sel:WORD_1
	v_fmac_f16_e32 v7, v5, v4
	v_fma_f16 v4, v4, v6, -v8
	v_cvt_f32_f16_e32 v5, v7
	v_cvt_f32_f16_e32 v6, v4
	v_cvt_f64_f32_e32 v[4:5], v5
	v_cvt_f64_f32_e32 v[6:7], v6
	v_mul_f64 v[4:5], v[4:5], s[8:9]
	v_mul_f64 v[6:7], v[6:7], s[8:9]
	v_and_or_b32 v4, 0x1ff, v5, v4
	v_and_or_b32 v6, 0x1ff, v7, v6
	v_lshrrev_b32_e32 v8, 8, v5
	v_bfe_u32 v9, v5, 20, 11
	v_lshrrev_b32_e32 v10, 8, v7
	v_cmp_ne_u32_e32 vcc_lo, 0, v4
	v_bfe_u32 v11, v7, 20, 11
	v_lshrrev_b32_e32 v5, 16, v5
	v_sub_nc_u32_e32 v12, 0x3f1, v9
	v_add_nc_u32_e32 v9, 0xfffffc10, v9
	v_cndmask_b32_e64 v4, 0, 1, vcc_lo
	v_cmp_ne_u32_e32 vcc_lo, 0, v6
	v_lshrrev_b32_e32 v7, 16, v7
	v_and_or_b32 v4, 0xffe, v8, v4
	v_cndmask_b32_e64 v6, 0, 1, vcc_lo
	v_sub_nc_u32_e32 v8, 0x3f1, v11
	v_add_nc_u32_e32 v11, 0xfffffc10, v11
	v_and_or_b32 v6, 0xffe, v10, v6
	v_med3_i32 v10, v12, 0, 13
	v_or_b32_e32 v12, 0x1000, v4
	v_med3_i32 v8, v8, 0, 13
	v_or_b32_e32 v13, 0x1000, v6
	v_lshrrev_b32_e32 v14, v10, v12
	v_lshrrev_b32_e32 v15, v8, v13
	v_lshlrev_b32_e32 v10, v10, v14
	v_lshlrev_b32_e32 v8, v8, v15
	v_cmp_ne_u32_e32 vcc_lo, v10, v12
	v_lshl_or_b32 v12, v9, 12, v4
	v_cndmask_b32_e64 v10, 0, 1, vcc_lo
	v_cmp_ne_u32_e32 vcc_lo, v8, v13
	v_lshl_or_b32 v13, v11, 12, v6
	v_or_b32_e32 v10, v14, v10
	v_cndmask_b32_e64 v8, 0, 1, vcc_lo
	v_cmp_gt_i32_e32 vcc_lo, 1, v9
	v_or_b32_e32 v8, v15, v8
	v_cndmask_b32_e32 v10, v12, v10, vcc_lo
	v_cmp_gt_i32_e32 vcc_lo, 1, v11
	v_and_b32_e32 v12, 7, v10
	v_cndmask_b32_e32 v8, v13, v8, vcc_lo
	v_cmp_ne_u32_e32 vcc_lo, 0, v4
	v_lshrrev_b32_e32 v10, 2, v10
	v_cmp_eq_u32_e64 s0, 3, v12
	v_and_b32_e32 v13, 7, v8
	v_cndmask_b32_e64 v4, 0, 1, vcc_lo
	v_cmp_ne_u32_e32 vcc_lo, 0, v6
	v_lshrrev_b32_e32 v8, 2, v8
	v_cmp_lt_i32_e64 s1, 5, v13
	v_cmp_eq_u32_e64 s2, 3, v13
	v_cndmask_b32_e64 v6, 0, 1, vcc_lo
	v_cmp_lt_i32_e32 vcc_lo, 5, v12
	v_lshl_or_b32 v4, v4, 9, 0x7c00
	v_lshl_or_b32 v6, v6, 9, 0x7c00
	s_or_b32 vcc_lo, s0, vcc_lo
	v_add_co_ci_u32_e32 v10, vcc_lo, 0, v10, vcc_lo
	s_or_b32 vcc_lo, s2, s1
	v_add_co_ci_u32_e32 v8, vcc_lo, 0, v8, vcc_lo
	v_cmp_gt_i32_e32 vcc_lo, 31, v9
	v_cndmask_b32_e32 v10, 0x7c00, v10, vcc_lo
	v_cmp_gt_i32_e32 vcc_lo, 31, v11
	v_cndmask_b32_e32 v8, 0x7c00, v8, vcc_lo
	v_cmp_eq_u32_e32 vcc_lo, 0x40f, v9
	v_cndmask_b32_e32 v4, v10, v4, vcc_lo
	v_cmp_eq_u32_e32 vcc_lo, 0x40f, v11
	v_and_or_b32 v4, 0x8000, v5, v4
	v_cndmask_b32_e32 v6, v8, v6, vcc_lo
	v_add_co_u32 v2, vcc_lo, v2, s6
	v_add_co_ci_u32_e32 v3, vcc_lo, s3, v3, vcc_lo
	v_and_or_b32 v5, 0x8000, v7, v6
	v_and_b32_e32 v4, 0xffff, v4
	v_lshl_or_b32 v4, v5, 16, v4
	global_store_dword v[2:3], v4, off
	global_load_dword v6, v27, s[12:13] offset:648
	ds_read2_b32 v[4:5], v25 offset0:162 offset1:180
	s_waitcnt lgkmcnt(0)
	v_lshrrev_b32_e32 v7, 16, v4
	s_waitcnt vmcnt(0)
	v_mul_f16_sdwa v8, v7, v6 dst_sel:DWORD dst_unused:UNUSED_PAD src0_sel:DWORD src1_sel:WORD_1
	v_mul_f16_sdwa v9, v4, v6 dst_sel:DWORD dst_unused:UNUSED_PAD src0_sel:DWORD src1_sel:WORD_1
	v_fmac_f16_e32 v8, v4, v6
	v_fma_f16 v4, v6, v7, -v9
	v_cvt_f32_f16_e32 v6, v8
	v_cvt_f32_f16_e32 v4, v4
	v_cvt_f64_f32_e32 v[6:7], v6
	v_cvt_f64_f32_e32 v[8:9], v4
	v_mul_f64 v[6:7], v[6:7], s[8:9]
	v_mul_f64 v[8:9], v[8:9], s[8:9]
	v_and_or_b32 v4, 0x1ff, v7, v6
	v_and_or_b32 v8, 0x1ff, v9, v8
	v_lshrrev_b32_e32 v6, 8, v7
	v_bfe_u32 v10, v7, 20, 11
	v_lshrrev_b32_e32 v11, 8, v9
	v_cmp_ne_u32_e32 vcc_lo, 0, v4
	v_bfe_u32 v12, v9, 20, 11
	v_lshrrev_b32_e32 v7, 16, v7
	v_sub_nc_u32_e32 v13, 0x3f1, v10
	v_add_nc_u32_e32 v10, 0xfffffc10, v10
	v_cndmask_b32_e64 v4, 0, 1, vcc_lo
	v_cmp_ne_u32_e32 vcc_lo, 0, v8
	v_lshrrev_b32_e32 v9, 16, v9
	v_and_or_b32 v4, 0xffe, v6, v4
	v_cndmask_b32_e64 v8, 0, 1, vcc_lo
	v_sub_nc_u32_e32 v6, 0x3f1, v12
	v_add_nc_u32_e32 v12, 0xfffffc10, v12
	v_and_or_b32 v8, 0xffe, v11, v8
	v_med3_i32 v11, v13, 0, 13
	v_or_b32_e32 v13, 0x1000, v4
	v_med3_i32 v6, v6, 0, 13
	v_or_b32_e32 v14, 0x1000, v8
	v_lshrrev_b32_e32 v15, v11, v13
	v_lshrrev_b32_e32 v16, v6, v14
	v_lshlrev_b32_e32 v11, v11, v15
	v_lshlrev_b32_e32 v6, v6, v16
	v_cmp_ne_u32_e32 vcc_lo, v11, v13
	v_lshl_or_b32 v13, v10, 12, v4
	v_cndmask_b32_e64 v11, 0, 1, vcc_lo
	v_cmp_ne_u32_e32 vcc_lo, v6, v14
	v_lshl_or_b32 v14, v12, 12, v8
	v_or_b32_e32 v11, v15, v11
	v_cndmask_b32_e64 v6, 0, 1, vcc_lo
	v_cmp_gt_i32_e32 vcc_lo, 1, v10
	v_or_b32_e32 v6, v16, v6
	v_cndmask_b32_e32 v11, v13, v11, vcc_lo
	v_cmp_gt_i32_e32 vcc_lo, 1, v12
	v_and_b32_e32 v13, 7, v11
	v_cndmask_b32_e32 v6, v14, v6, vcc_lo
	v_cmp_ne_u32_e32 vcc_lo, 0, v4
	v_lshrrev_b32_e32 v11, 2, v11
	v_cmp_eq_u32_e64 s0, 3, v13
	v_and_b32_e32 v14, 7, v6
	v_cndmask_b32_e64 v4, 0, 1, vcc_lo
	v_cmp_ne_u32_e32 vcc_lo, 0, v8
	v_lshrrev_b32_e32 v6, 2, v6
	v_cmp_lt_i32_e64 s1, 5, v14
	v_cmp_eq_u32_e64 s2, 3, v14
	v_cndmask_b32_e64 v8, 0, 1, vcc_lo
	v_cmp_lt_i32_e32 vcc_lo, 5, v13
	v_lshl_or_b32 v4, v4, 9, 0x7c00
	v_lshl_or_b32 v8, v8, 9, 0x7c00
	s_or_b32 vcc_lo, s0, vcc_lo
	v_add_co_ci_u32_e32 v11, vcc_lo, 0, v11, vcc_lo
	s_or_b32 vcc_lo, s2, s1
	v_add_co_ci_u32_e32 v6, vcc_lo, 0, v6, vcc_lo
	v_cmp_gt_i32_e32 vcc_lo, 31, v10
	v_cndmask_b32_e32 v11, 0x7c00, v11, vcc_lo
	v_cmp_gt_i32_e32 vcc_lo, 31, v12
	v_cndmask_b32_e32 v6, 0x7c00, v6, vcc_lo
	v_cmp_eq_u32_e32 vcc_lo, 0x40f, v10
	v_cndmask_b32_e32 v4, v11, v4, vcc_lo
	v_cmp_eq_u32_e32 vcc_lo, 0x40f, v12
	v_and_or_b32 v4, 0x8000, v7, v4
	v_cndmask_b32_e32 v6, v6, v8, vcc_lo
	v_add_co_u32 v2, vcc_lo, v2, s6
	v_add_co_ci_u32_e32 v3, vcc_lo, s3, v3, vcc_lo
	v_and_or_b32 v6, 0x8000, v9, v6
	v_and_b32_e32 v4, 0xffff, v4
	v_lshl_or_b32 v4, v6, 16, v4
	v_lshrrev_b32_e32 v6, 16, v5
	global_store_dword v[2:3], v4, off
	global_load_dword v4, v27, s[12:13] offset:720
	s_waitcnt vmcnt(0)
	v_mul_f16_sdwa v7, v6, v4 dst_sel:DWORD dst_unused:UNUSED_PAD src0_sel:DWORD src1_sel:WORD_1
	v_mul_f16_sdwa v8, v5, v4 dst_sel:DWORD dst_unused:UNUSED_PAD src0_sel:DWORD src1_sel:WORD_1
	v_fmac_f16_e32 v7, v5, v4
	v_fma_f16 v4, v4, v6, -v8
	v_cvt_f32_f16_e32 v5, v7
	v_cvt_f32_f16_e32 v6, v4
	v_cvt_f64_f32_e32 v[4:5], v5
	v_cvt_f64_f32_e32 v[6:7], v6
	v_mul_f64 v[4:5], v[4:5], s[8:9]
	v_mul_f64 v[6:7], v[6:7], s[8:9]
	v_and_or_b32 v4, 0x1ff, v5, v4
	v_and_or_b32 v6, 0x1ff, v7, v6
	v_lshrrev_b32_e32 v8, 8, v5
	v_bfe_u32 v9, v5, 20, 11
	v_lshrrev_b32_e32 v10, 8, v7
	v_cmp_ne_u32_e32 vcc_lo, 0, v4
	v_bfe_u32 v11, v7, 20, 11
	v_lshrrev_b32_e32 v5, 16, v5
	v_sub_nc_u32_e32 v12, 0x3f1, v9
	v_add_nc_u32_e32 v9, 0xfffffc10, v9
	v_cndmask_b32_e64 v4, 0, 1, vcc_lo
	v_cmp_ne_u32_e32 vcc_lo, 0, v6
	v_lshrrev_b32_e32 v7, 16, v7
	v_and_or_b32 v4, 0xffe, v8, v4
	v_cndmask_b32_e64 v6, 0, 1, vcc_lo
	v_sub_nc_u32_e32 v8, 0x3f1, v11
	v_add_nc_u32_e32 v11, 0xfffffc10, v11
	v_and_or_b32 v6, 0xffe, v10, v6
	v_med3_i32 v10, v12, 0, 13
	v_or_b32_e32 v12, 0x1000, v4
	v_med3_i32 v8, v8, 0, 13
	v_or_b32_e32 v13, 0x1000, v6
	v_lshrrev_b32_e32 v14, v10, v12
	v_lshrrev_b32_e32 v15, v8, v13
	v_lshlrev_b32_e32 v10, v10, v14
	v_lshlrev_b32_e32 v8, v8, v15
	v_cmp_ne_u32_e32 vcc_lo, v10, v12
	v_lshl_or_b32 v12, v9, 12, v4
	v_cndmask_b32_e64 v10, 0, 1, vcc_lo
	v_cmp_ne_u32_e32 vcc_lo, v8, v13
	v_lshl_or_b32 v13, v11, 12, v6
	v_or_b32_e32 v10, v14, v10
	v_cndmask_b32_e64 v8, 0, 1, vcc_lo
	v_cmp_gt_i32_e32 vcc_lo, 1, v9
	v_or_b32_e32 v8, v15, v8
	v_cndmask_b32_e32 v10, v12, v10, vcc_lo
	v_cmp_gt_i32_e32 vcc_lo, 1, v11
	v_and_b32_e32 v12, 7, v10
	v_cndmask_b32_e32 v8, v13, v8, vcc_lo
	v_cmp_ne_u32_e32 vcc_lo, 0, v4
	v_lshrrev_b32_e32 v10, 2, v10
	v_cmp_eq_u32_e64 s0, 3, v12
	v_and_b32_e32 v13, 7, v8
	v_cndmask_b32_e64 v4, 0, 1, vcc_lo
	v_cmp_ne_u32_e32 vcc_lo, 0, v6
	v_lshrrev_b32_e32 v8, 2, v8
	v_cmp_lt_i32_e64 s1, 5, v13
	v_cmp_eq_u32_e64 s2, 3, v13
	v_cndmask_b32_e64 v6, 0, 1, vcc_lo
	v_cmp_lt_i32_e32 vcc_lo, 5, v12
	v_lshl_or_b32 v4, v4, 9, 0x7c00
	v_lshl_or_b32 v6, v6, 9, 0x7c00
	s_or_b32 vcc_lo, s0, vcc_lo
	v_add_co_ci_u32_e32 v10, vcc_lo, 0, v10, vcc_lo
	s_or_b32 vcc_lo, s2, s1
	v_add_co_ci_u32_e32 v8, vcc_lo, 0, v8, vcc_lo
	v_cmp_gt_i32_e32 vcc_lo, 31, v9
	v_cndmask_b32_e32 v10, 0x7c00, v10, vcc_lo
	v_cmp_gt_i32_e32 vcc_lo, 31, v11
	v_cndmask_b32_e32 v8, 0x7c00, v8, vcc_lo
	v_cmp_eq_u32_e32 vcc_lo, 0x40f, v9
	v_cndmask_b32_e32 v4, v10, v4, vcc_lo
	v_cmp_eq_u32_e32 vcc_lo, 0x40f, v11
	v_and_or_b32 v4, 0x8000, v5, v4
	v_cndmask_b32_e32 v6, v8, v6, vcc_lo
	v_add_co_u32 v2, vcc_lo, v2, s6
	v_add_co_ci_u32_e32 v3, vcc_lo, s3, v3, vcc_lo
	v_and_or_b32 v5, 0x8000, v7, v6
	v_and_b32_e32 v4, 0xffff, v4
	v_lshl_or_b32 v4, v5, 16, v4
	global_store_dword v[2:3], v4, off
	global_load_dword v6, v27, s[12:13] offset:792
	ds_read2_b32 v[4:5], v25 offset0:198 offset1:216
	s_waitcnt lgkmcnt(0)
	v_lshrrev_b32_e32 v7, 16, v4
	s_waitcnt vmcnt(0)
	v_mul_f16_sdwa v8, v7, v6 dst_sel:DWORD dst_unused:UNUSED_PAD src0_sel:DWORD src1_sel:WORD_1
	v_mul_f16_sdwa v9, v4, v6 dst_sel:DWORD dst_unused:UNUSED_PAD src0_sel:DWORD src1_sel:WORD_1
	v_fmac_f16_e32 v8, v4, v6
	v_fma_f16 v4, v6, v7, -v9
	v_cvt_f32_f16_e32 v6, v8
	v_cvt_f32_f16_e32 v4, v4
	v_cvt_f64_f32_e32 v[6:7], v6
	v_cvt_f64_f32_e32 v[8:9], v4
	v_mul_f64 v[6:7], v[6:7], s[8:9]
	v_mul_f64 v[8:9], v[8:9], s[8:9]
	v_and_or_b32 v4, 0x1ff, v7, v6
	v_and_or_b32 v8, 0x1ff, v9, v8
	v_lshrrev_b32_e32 v6, 8, v7
	v_bfe_u32 v10, v7, 20, 11
	v_lshrrev_b32_e32 v11, 8, v9
	v_cmp_ne_u32_e32 vcc_lo, 0, v4
	v_bfe_u32 v12, v9, 20, 11
	v_lshrrev_b32_e32 v7, 16, v7
	v_sub_nc_u32_e32 v13, 0x3f1, v10
	v_add_nc_u32_e32 v10, 0xfffffc10, v10
	v_cndmask_b32_e64 v4, 0, 1, vcc_lo
	v_cmp_ne_u32_e32 vcc_lo, 0, v8
	v_lshrrev_b32_e32 v9, 16, v9
	v_and_or_b32 v4, 0xffe, v6, v4
	v_cndmask_b32_e64 v8, 0, 1, vcc_lo
	v_sub_nc_u32_e32 v6, 0x3f1, v12
	v_add_nc_u32_e32 v12, 0xfffffc10, v12
	v_and_or_b32 v8, 0xffe, v11, v8
	v_med3_i32 v11, v13, 0, 13
	v_or_b32_e32 v13, 0x1000, v4
	v_med3_i32 v6, v6, 0, 13
	v_or_b32_e32 v14, 0x1000, v8
	v_lshrrev_b32_e32 v15, v11, v13
	v_lshrrev_b32_e32 v16, v6, v14
	v_lshlrev_b32_e32 v11, v11, v15
	v_lshlrev_b32_e32 v6, v6, v16
	v_cmp_ne_u32_e32 vcc_lo, v11, v13
	v_lshl_or_b32 v13, v10, 12, v4
	v_cndmask_b32_e64 v11, 0, 1, vcc_lo
	v_cmp_ne_u32_e32 vcc_lo, v6, v14
	v_lshl_or_b32 v14, v12, 12, v8
	v_or_b32_e32 v11, v15, v11
	v_cndmask_b32_e64 v6, 0, 1, vcc_lo
	v_cmp_gt_i32_e32 vcc_lo, 1, v10
	v_or_b32_e32 v6, v16, v6
	v_cndmask_b32_e32 v11, v13, v11, vcc_lo
	v_cmp_gt_i32_e32 vcc_lo, 1, v12
	v_and_b32_e32 v13, 7, v11
	v_cndmask_b32_e32 v6, v14, v6, vcc_lo
	v_cmp_ne_u32_e32 vcc_lo, 0, v4
	v_lshrrev_b32_e32 v11, 2, v11
	v_cmp_eq_u32_e64 s0, 3, v13
	v_and_b32_e32 v14, 7, v6
	v_cndmask_b32_e64 v4, 0, 1, vcc_lo
	v_cmp_ne_u32_e32 vcc_lo, 0, v8
	v_lshrrev_b32_e32 v6, 2, v6
	v_cmp_lt_i32_e64 s1, 5, v14
	v_cmp_eq_u32_e64 s2, 3, v14
	v_cndmask_b32_e64 v8, 0, 1, vcc_lo
	v_cmp_lt_i32_e32 vcc_lo, 5, v13
	v_lshl_or_b32 v4, v4, 9, 0x7c00
	v_lshl_or_b32 v8, v8, 9, 0x7c00
	s_or_b32 vcc_lo, s0, vcc_lo
	v_add_co_ci_u32_e32 v11, vcc_lo, 0, v11, vcc_lo
	s_or_b32 vcc_lo, s2, s1
	v_add_co_ci_u32_e32 v6, vcc_lo, 0, v6, vcc_lo
	v_cmp_gt_i32_e32 vcc_lo, 31, v10
	v_cndmask_b32_e32 v11, 0x7c00, v11, vcc_lo
	v_cmp_gt_i32_e32 vcc_lo, 31, v12
	v_cndmask_b32_e32 v6, 0x7c00, v6, vcc_lo
	v_cmp_eq_u32_e32 vcc_lo, 0x40f, v10
	v_cndmask_b32_e32 v4, v11, v4, vcc_lo
	v_cmp_eq_u32_e32 vcc_lo, 0x40f, v12
	v_and_or_b32 v4, 0x8000, v7, v4
	v_cndmask_b32_e32 v6, v6, v8, vcc_lo
	v_add_co_u32 v2, vcc_lo, v2, s6
	v_add_co_ci_u32_e32 v3, vcc_lo, s3, v3, vcc_lo
	v_and_or_b32 v6, 0x8000, v9, v6
	v_and_b32_e32 v4, 0xffff, v4
	v_lshl_or_b32 v4, v6, 16, v4
	v_lshrrev_b32_e32 v6, 16, v5
	global_store_dword v[2:3], v4, off
	global_load_dword v4, v27, s[12:13] offset:864
	s_waitcnt vmcnt(0)
	v_mul_f16_sdwa v7, v6, v4 dst_sel:DWORD dst_unused:UNUSED_PAD src0_sel:DWORD src1_sel:WORD_1
	v_mul_f16_sdwa v8, v5, v4 dst_sel:DWORD dst_unused:UNUSED_PAD src0_sel:DWORD src1_sel:WORD_1
	v_fmac_f16_e32 v7, v5, v4
	v_fma_f16 v4, v4, v6, -v8
	v_cvt_f32_f16_e32 v5, v7
	v_cvt_f32_f16_e32 v6, v4
	v_cvt_f64_f32_e32 v[4:5], v5
	v_cvt_f64_f32_e32 v[6:7], v6
	v_mul_f64 v[4:5], v[4:5], s[8:9]
	v_mul_f64 v[6:7], v[6:7], s[8:9]
	v_and_or_b32 v4, 0x1ff, v5, v4
	v_and_or_b32 v6, 0x1ff, v7, v6
	v_lshrrev_b32_e32 v8, 8, v5
	v_bfe_u32 v9, v5, 20, 11
	v_lshrrev_b32_e32 v10, 8, v7
	v_cmp_ne_u32_e32 vcc_lo, 0, v4
	v_bfe_u32 v11, v7, 20, 11
	v_lshrrev_b32_e32 v5, 16, v5
	v_sub_nc_u32_e32 v12, 0x3f1, v9
	v_add_nc_u32_e32 v9, 0xfffffc10, v9
	v_cndmask_b32_e64 v4, 0, 1, vcc_lo
	v_cmp_ne_u32_e32 vcc_lo, 0, v6
	v_lshrrev_b32_e32 v7, 16, v7
	v_and_or_b32 v4, 0xffe, v8, v4
	v_cndmask_b32_e64 v6, 0, 1, vcc_lo
	v_sub_nc_u32_e32 v8, 0x3f1, v11
	v_add_nc_u32_e32 v11, 0xfffffc10, v11
	v_and_or_b32 v6, 0xffe, v10, v6
	v_med3_i32 v10, v12, 0, 13
	v_or_b32_e32 v12, 0x1000, v4
	v_med3_i32 v8, v8, 0, 13
	v_or_b32_e32 v13, 0x1000, v6
	v_lshrrev_b32_e32 v14, v10, v12
	v_lshrrev_b32_e32 v15, v8, v13
	v_lshlrev_b32_e32 v10, v10, v14
	v_lshlrev_b32_e32 v8, v8, v15
	v_cmp_ne_u32_e32 vcc_lo, v10, v12
	v_lshl_or_b32 v12, v9, 12, v4
	v_cndmask_b32_e64 v10, 0, 1, vcc_lo
	v_cmp_ne_u32_e32 vcc_lo, v8, v13
	v_lshl_or_b32 v13, v11, 12, v6
	v_or_b32_e32 v10, v14, v10
	v_cndmask_b32_e64 v8, 0, 1, vcc_lo
	v_cmp_gt_i32_e32 vcc_lo, 1, v9
	v_or_b32_e32 v8, v15, v8
	v_cndmask_b32_e32 v10, v12, v10, vcc_lo
	v_cmp_gt_i32_e32 vcc_lo, 1, v11
	v_and_b32_e32 v12, 7, v10
	v_cndmask_b32_e32 v8, v13, v8, vcc_lo
	v_cmp_ne_u32_e32 vcc_lo, 0, v4
	v_lshrrev_b32_e32 v10, 2, v10
	v_cmp_eq_u32_e64 s0, 3, v12
	v_and_b32_e32 v13, 7, v8
	v_cndmask_b32_e64 v4, 0, 1, vcc_lo
	v_cmp_ne_u32_e32 vcc_lo, 0, v6
	v_lshrrev_b32_e32 v8, 2, v8
	v_cmp_lt_i32_e64 s1, 5, v13
	v_cmp_eq_u32_e64 s2, 3, v13
	v_cndmask_b32_e64 v6, 0, 1, vcc_lo
	v_cmp_lt_i32_e32 vcc_lo, 5, v12
	v_lshl_or_b32 v4, v4, 9, 0x7c00
	v_lshl_or_b32 v6, v6, 9, 0x7c00
	s_or_b32 vcc_lo, s0, vcc_lo
	v_add_co_ci_u32_e32 v10, vcc_lo, 0, v10, vcc_lo
	s_or_b32 vcc_lo, s2, s1
	v_add_co_ci_u32_e32 v8, vcc_lo, 0, v8, vcc_lo
	v_cmp_gt_i32_e32 vcc_lo, 31, v9
	v_cndmask_b32_e32 v10, 0x7c00, v10, vcc_lo
	v_cmp_gt_i32_e32 vcc_lo, 31, v11
	v_cndmask_b32_e32 v8, 0x7c00, v8, vcc_lo
	v_cmp_eq_u32_e32 vcc_lo, 0x40f, v9
	v_cndmask_b32_e32 v4, v10, v4, vcc_lo
	v_cmp_eq_u32_e32 vcc_lo, 0x40f, v11
	v_and_or_b32 v4, 0x8000, v5, v4
	v_cndmask_b32_e32 v6, v8, v6, vcc_lo
	v_add_co_u32 v2, vcc_lo, v2, s6
	v_add_co_ci_u32_e32 v3, vcc_lo, s3, v3, vcc_lo
	v_and_or_b32 v5, 0x8000, v7, v6
	v_and_b32_e32 v4, 0xffff, v4
	v_lshl_or_b32 v4, v5, 16, v4
	global_store_dword v[2:3], v4, off
	global_load_dword v6, v27, s[12:13] offset:936
	ds_read2_b32 v[4:5], v25 offset0:234 offset1:252
	s_waitcnt lgkmcnt(0)
	v_lshrrev_b32_e32 v7, 16, v4
	s_waitcnt vmcnt(0)
	v_mul_f16_sdwa v8, v7, v6 dst_sel:DWORD dst_unused:UNUSED_PAD src0_sel:DWORD src1_sel:WORD_1
	v_mul_f16_sdwa v9, v4, v6 dst_sel:DWORD dst_unused:UNUSED_PAD src0_sel:DWORD src1_sel:WORD_1
	v_fmac_f16_e32 v8, v4, v6
	v_fma_f16 v4, v6, v7, -v9
	v_cvt_f32_f16_e32 v6, v8
	v_cvt_f32_f16_e32 v4, v4
	v_cvt_f64_f32_e32 v[6:7], v6
	v_cvt_f64_f32_e32 v[8:9], v4
	v_mul_f64 v[6:7], v[6:7], s[8:9]
	v_mul_f64 v[8:9], v[8:9], s[8:9]
	v_and_or_b32 v4, 0x1ff, v7, v6
	v_and_or_b32 v8, 0x1ff, v9, v8
	v_lshrrev_b32_e32 v6, 8, v7
	v_bfe_u32 v10, v7, 20, 11
	v_lshrrev_b32_e32 v11, 8, v9
	v_cmp_ne_u32_e32 vcc_lo, 0, v4
	v_bfe_u32 v12, v9, 20, 11
	v_lshrrev_b32_e32 v7, 16, v7
	v_sub_nc_u32_e32 v13, 0x3f1, v10
	v_add_nc_u32_e32 v10, 0xfffffc10, v10
	v_cndmask_b32_e64 v4, 0, 1, vcc_lo
	v_cmp_ne_u32_e32 vcc_lo, 0, v8
	v_lshrrev_b32_e32 v9, 16, v9
	v_and_or_b32 v4, 0xffe, v6, v4
	v_cndmask_b32_e64 v8, 0, 1, vcc_lo
	v_sub_nc_u32_e32 v6, 0x3f1, v12
	v_add_nc_u32_e32 v12, 0xfffffc10, v12
	v_and_or_b32 v8, 0xffe, v11, v8
	v_med3_i32 v11, v13, 0, 13
	v_or_b32_e32 v13, 0x1000, v4
	v_med3_i32 v6, v6, 0, 13
	v_or_b32_e32 v14, 0x1000, v8
	v_lshrrev_b32_e32 v15, v11, v13
	v_lshrrev_b32_e32 v16, v6, v14
	v_lshlrev_b32_e32 v11, v11, v15
	v_lshlrev_b32_e32 v6, v6, v16
	v_cmp_ne_u32_e32 vcc_lo, v11, v13
	v_lshl_or_b32 v13, v10, 12, v4
	v_cndmask_b32_e64 v11, 0, 1, vcc_lo
	v_cmp_ne_u32_e32 vcc_lo, v6, v14
	v_lshl_or_b32 v14, v12, 12, v8
	v_or_b32_e32 v11, v15, v11
	v_cndmask_b32_e64 v6, 0, 1, vcc_lo
	v_cmp_gt_i32_e32 vcc_lo, 1, v10
	v_or_b32_e32 v6, v16, v6
	v_cndmask_b32_e32 v11, v13, v11, vcc_lo
	v_cmp_gt_i32_e32 vcc_lo, 1, v12
	v_and_b32_e32 v13, 7, v11
	v_cndmask_b32_e32 v6, v14, v6, vcc_lo
	v_cmp_ne_u32_e32 vcc_lo, 0, v4
	v_lshrrev_b32_e32 v11, 2, v11
	v_cmp_eq_u32_e64 s0, 3, v13
	v_and_b32_e32 v14, 7, v6
	v_cndmask_b32_e64 v4, 0, 1, vcc_lo
	v_cmp_ne_u32_e32 vcc_lo, 0, v8
	v_lshrrev_b32_e32 v6, 2, v6
	v_cmp_lt_i32_e64 s1, 5, v14
	v_cmp_eq_u32_e64 s2, 3, v14
	v_cndmask_b32_e64 v8, 0, 1, vcc_lo
	v_cmp_lt_i32_e32 vcc_lo, 5, v13
	v_lshl_or_b32 v4, v4, 9, 0x7c00
	v_lshl_or_b32 v8, v8, 9, 0x7c00
	s_or_b32 vcc_lo, s0, vcc_lo
	v_add_co_ci_u32_e32 v11, vcc_lo, 0, v11, vcc_lo
	s_or_b32 vcc_lo, s2, s1
	v_add_co_ci_u32_e32 v6, vcc_lo, 0, v6, vcc_lo
	v_cmp_gt_i32_e32 vcc_lo, 31, v10
	v_cndmask_b32_e32 v11, 0x7c00, v11, vcc_lo
	v_cmp_gt_i32_e32 vcc_lo, 31, v12
	v_cndmask_b32_e32 v6, 0x7c00, v6, vcc_lo
	v_cmp_eq_u32_e32 vcc_lo, 0x40f, v10
	v_cndmask_b32_e32 v4, v11, v4, vcc_lo
	v_cmp_eq_u32_e32 vcc_lo, 0x40f, v12
	v_and_or_b32 v4, 0x8000, v7, v4
	v_cndmask_b32_e32 v6, v6, v8, vcc_lo
	v_add_co_u32 v2, vcc_lo, v2, s6
	v_add_co_ci_u32_e32 v3, vcc_lo, s3, v3, vcc_lo
	v_and_or_b32 v6, 0x8000, v9, v6
	v_and_b32_e32 v4, 0xffff, v4
	v_lshl_or_b32 v4, v6, 16, v4
	v_lshrrev_b32_e32 v6, 16, v5
	global_store_dword v[2:3], v4, off
	global_load_dword v4, v27, s[12:13] offset:1008
	s_waitcnt vmcnt(0)
	v_mul_f16_sdwa v7, v6, v4 dst_sel:DWORD dst_unused:UNUSED_PAD src0_sel:DWORD src1_sel:WORD_1
	v_mul_f16_sdwa v8, v5, v4 dst_sel:DWORD dst_unused:UNUSED_PAD src0_sel:DWORD src1_sel:WORD_1
	v_fmac_f16_e32 v7, v5, v4
	v_fma_f16 v4, v4, v6, -v8
	v_cvt_f32_f16_e32 v5, v7
	v_cvt_f32_f16_e32 v6, v4
	v_cvt_f64_f32_e32 v[4:5], v5
	v_cvt_f64_f32_e32 v[6:7], v6
	v_mul_f64 v[4:5], v[4:5], s[8:9]
	v_mul_f64 v[6:7], v[6:7], s[8:9]
	v_and_or_b32 v4, 0x1ff, v5, v4
	v_and_or_b32 v6, 0x1ff, v7, v6
	v_lshrrev_b32_e32 v8, 8, v5
	v_bfe_u32 v9, v5, 20, 11
	v_lshrrev_b32_e32 v10, 8, v7
	v_cmp_ne_u32_e32 vcc_lo, 0, v4
	v_bfe_u32 v11, v7, 20, 11
	v_lshrrev_b32_e32 v5, 16, v5
	v_sub_nc_u32_e32 v12, 0x3f1, v9
	v_add_nc_u32_e32 v9, 0xfffffc10, v9
	v_cndmask_b32_e64 v4, 0, 1, vcc_lo
	v_cmp_ne_u32_e32 vcc_lo, 0, v6
	v_lshrrev_b32_e32 v7, 16, v7
	v_and_or_b32 v4, 0xffe, v8, v4
	v_cndmask_b32_e64 v6, 0, 1, vcc_lo
	v_sub_nc_u32_e32 v8, 0x3f1, v11
	v_add_nc_u32_e32 v11, 0xfffffc10, v11
	v_and_or_b32 v6, 0xffe, v10, v6
	v_med3_i32 v10, v12, 0, 13
	v_or_b32_e32 v12, 0x1000, v4
	v_med3_i32 v8, v8, 0, 13
	v_or_b32_e32 v13, 0x1000, v6
	v_lshrrev_b32_e32 v14, v10, v12
	v_lshrrev_b32_e32 v15, v8, v13
	v_lshlrev_b32_e32 v10, v10, v14
	v_lshlrev_b32_e32 v8, v8, v15
	v_cmp_ne_u32_e32 vcc_lo, v10, v12
	v_lshl_or_b32 v12, v9, 12, v4
	v_cndmask_b32_e64 v10, 0, 1, vcc_lo
	v_cmp_ne_u32_e32 vcc_lo, v8, v13
	v_lshl_or_b32 v13, v11, 12, v6
	v_or_b32_e32 v10, v14, v10
	v_cndmask_b32_e64 v8, 0, 1, vcc_lo
	v_cmp_gt_i32_e32 vcc_lo, 1, v9
	v_or_b32_e32 v8, v15, v8
	v_cndmask_b32_e32 v10, v12, v10, vcc_lo
	v_cmp_gt_i32_e32 vcc_lo, 1, v11
	v_and_b32_e32 v12, 7, v10
	v_cndmask_b32_e32 v8, v13, v8, vcc_lo
	v_cmp_ne_u32_e32 vcc_lo, 0, v4
	v_lshrrev_b32_e32 v10, 2, v10
	v_cmp_eq_u32_e64 s0, 3, v12
	v_and_b32_e32 v13, 7, v8
	v_cndmask_b32_e64 v4, 0, 1, vcc_lo
	v_cmp_ne_u32_e32 vcc_lo, 0, v6
	v_lshrrev_b32_e32 v8, 2, v8
	v_cmp_lt_i32_e64 s1, 5, v13
	v_cmp_eq_u32_e64 s2, 3, v13
	v_cndmask_b32_e64 v6, 0, 1, vcc_lo
	v_cmp_lt_i32_e32 vcc_lo, 5, v12
	v_lshl_or_b32 v4, v4, 9, 0x7c00
	v_lshl_or_b32 v6, v6, 9, 0x7c00
	s_or_b32 vcc_lo, s0, vcc_lo
	v_add_co_ci_u32_e32 v10, vcc_lo, 0, v10, vcc_lo
	s_or_b32 vcc_lo, s2, s1
	v_add_co_ci_u32_e32 v8, vcc_lo, 0, v8, vcc_lo
	v_cmp_gt_i32_e32 vcc_lo, 31, v9
	v_cndmask_b32_e32 v10, 0x7c00, v10, vcc_lo
	v_cmp_gt_i32_e32 vcc_lo, 31, v11
	v_cndmask_b32_e32 v8, 0x7c00, v8, vcc_lo
	v_cmp_eq_u32_e32 vcc_lo, 0x40f, v9
	v_cndmask_b32_e32 v4, v10, v4, vcc_lo
	v_cmp_eq_u32_e32 vcc_lo, 0x40f, v11
	v_and_or_b32 v4, 0x8000, v5, v4
	v_cndmask_b32_e32 v6, v8, v6, vcc_lo
	v_add_co_u32 v2, vcc_lo, v2, s6
	v_add_co_ci_u32_e32 v3, vcc_lo, s3, v3, vcc_lo
	v_and_or_b32 v5, 0x8000, v7, v6
	v_and_b32_e32 v4, 0xffff, v4
	v_lshl_or_b32 v4, v5, 16, v4
	global_store_dword v[2:3], v4, off
	global_load_dword v6, v27, s[12:13] offset:1080
	v_add_nc_u32_e32 v4, 0x400, v25
	ds_read2_b32 v[4:5], v4 offset0:14 offset1:32
	s_waitcnt lgkmcnt(0)
	v_lshrrev_b32_e32 v7, 16, v4
	s_waitcnt vmcnt(0)
	v_mul_f16_sdwa v8, v7, v6 dst_sel:DWORD dst_unused:UNUSED_PAD src0_sel:DWORD src1_sel:WORD_1
	v_mul_f16_sdwa v9, v4, v6 dst_sel:DWORD dst_unused:UNUSED_PAD src0_sel:DWORD src1_sel:WORD_1
	v_fmac_f16_e32 v8, v4, v6
	v_fma_f16 v4, v6, v7, -v9
	v_cvt_f32_f16_e32 v6, v8
	v_cvt_f32_f16_e32 v4, v4
	v_cvt_f64_f32_e32 v[6:7], v6
	v_cvt_f64_f32_e32 v[8:9], v4
	v_mul_f64 v[6:7], v[6:7], s[8:9]
	v_mul_f64 v[8:9], v[8:9], s[8:9]
	v_and_or_b32 v4, 0x1ff, v7, v6
	v_and_or_b32 v8, 0x1ff, v9, v8
	v_lshrrev_b32_e32 v6, 8, v7
	v_bfe_u32 v10, v7, 20, 11
	v_lshrrev_b32_e32 v11, 8, v9
	v_cmp_ne_u32_e32 vcc_lo, 0, v4
	v_bfe_u32 v12, v9, 20, 11
	v_lshrrev_b32_e32 v7, 16, v7
	v_sub_nc_u32_e32 v13, 0x3f1, v10
	v_add_nc_u32_e32 v10, 0xfffffc10, v10
	v_cndmask_b32_e64 v4, 0, 1, vcc_lo
	v_cmp_ne_u32_e32 vcc_lo, 0, v8
	v_lshrrev_b32_e32 v9, 16, v9
	v_and_or_b32 v4, 0xffe, v6, v4
	v_cndmask_b32_e64 v8, 0, 1, vcc_lo
	v_sub_nc_u32_e32 v6, 0x3f1, v12
	v_add_nc_u32_e32 v12, 0xfffffc10, v12
	v_and_or_b32 v8, 0xffe, v11, v8
	v_med3_i32 v11, v13, 0, 13
	v_or_b32_e32 v13, 0x1000, v4
	v_med3_i32 v6, v6, 0, 13
	v_or_b32_e32 v14, 0x1000, v8
	v_lshrrev_b32_e32 v15, v11, v13
	v_lshrrev_b32_e32 v16, v6, v14
	v_lshlrev_b32_e32 v11, v11, v15
	v_lshlrev_b32_e32 v6, v6, v16
	v_cmp_ne_u32_e32 vcc_lo, v11, v13
	v_lshl_or_b32 v13, v10, 12, v4
	v_cndmask_b32_e64 v11, 0, 1, vcc_lo
	v_cmp_ne_u32_e32 vcc_lo, v6, v14
	v_lshl_or_b32 v14, v12, 12, v8
	v_or_b32_e32 v11, v15, v11
	v_cndmask_b32_e64 v6, 0, 1, vcc_lo
	v_cmp_gt_i32_e32 vcc_lo, 1, v10
	v_or_b32_e32 v6, v16, v6
	v_cndmask_b32_e32 v11, v13, v11, vcc_lo
	v_cmp_gt_i32_e32 vcc_lo, 1, v12
	v_and_b32_e32 v13, 7, v11
	v_cndmask_b32_e32 v6, v14, v6, vcc_lo
	v_cmp_ne_u32_e32 vcc_lo, 0, v4
	v_lshrrev_b32_e32 v11, 2, v11
	v_cmp_eq_u32_e64 s0, 3, v13
	v_and_b32_e32 v14, 7, v6
	v_cndmask_b32_e64 v4, 0, 1, vcc_lo
	v_cmp_ne_u32_e32 vcc_lo, 0, v8
	v_lshrrev_b32_e32 v6, 2, v6
	v_cmp_lt_i32_e64 s1, 5, v14
	v_cmp_eq_u32_e64 s2, 3, v14
	v_cndmask_b32_e64 v8, 0, 1, vcc_lo
	v_cmp_lt_i32_e32 vcc_lo, 5, v13
	v_lshl_or_b32 v4, v4, 9, 0x7c00
	v_lshl_or_b32 v8, v8, 9, 0x7c00
	s_or_b32 vcc_lo, s0, vcc_lo
	v_add_co_ci_u32_e32 v11, vcc_lo, 0, v11, vcc_lo
	s_or_b32 vcc_lo, s2, s1
	v_add_co_ci_u32_e32 v6, vcc_lo, 0, v6, vcc_lo
	v_cmp_gt_i32_e32 vcc_lo, 31, v10
	v_cndmask_b32_e32 v11, 0x7c00, v11, vcc_lo
	v_cmp_gt_i32_e32 vcc_lo, 31, v12
	v_cndmask_b32_e32 v6, 0x7c00, v6, vcc_lo
	v_cmp_eq_u32_e32 vcc_lo, 0x40f, v10
	v_cndmask_b32_e32 v4, v11, v4, vcc_lo
	v_cmp_eq_u32_e32 vcc_lo, 0x40f, v12
	v_and_or_b32 v4, 0x8000, v7, v4
	v_cndmask_b32_e32 v6, v6, v8, vcc_lo
	v_add_co_u32 v2, vcc_lo, v2, s6
	v_add_co_ci_u32_e32 v3, vcc_lo, s3, v3, vcc_lo
	v_and_or_b32 v6, 0x8000, v9, v6
	v_and_b32_e32 v4, 0xffff, v4
	v_lshl_or_b32 v4, v6, 16, v4
	global_store_dword v[2:3], v4, off
	global_load_dword v2, v27, s[12:13] offset:1152
	v_lshrrev_b32_e32 v3, 16, v5
	s_waitcnt vmcnt(0)
	v_mul_f16_sdwa v4, v3, v2 dst_sel:DWORD dst_unused:UNUSED_PAD src0_sel:DWORD src1_sel:WORD_1
	v_mul_f16_sdwa v6, v5, v2 dst_sel:DWORD dst_unused:UNUSED_PAD src0_sel:DWORD src1_sel:WORD_1
	v_fmac_f16_e32 v4, v5, v2
	v_fma_f16 v2, v2, v3, -v6
	v_cvt_f32_f16_e32 v3, v4
	v_cvt_f32_f16_e32 v4, v2
	v_cvt_f64_f32_e32 v[2:3], v3
	v_cvt_f64_f32_e32 v[4:5], v4
	v_mul_f64 v[2:3], v[2:3], s[8:9]
	v_mul_f64 v[4:5], v[4:5], s[8:9]
	v_and_or_b32 v2, 0x1ff, v3, v2
	v_and_or_b32 v4, 0x1ff, v5, v4
	v_lshrrev_b32_e32 v6, 8, v3
	v_bfe_u32 v8, v3, 20, 11
	v_bfe_u32 v9, v5, 20, 11
	v_cmp_ne_u32_e32 vcc_lo, 0, v2
	v_lshrrev_b32_e32 v7, 8, v5
	v_lshrrev_b32_e32 v5, 16, v5
	v_sub_nc_u32_e32 v10, 0x3f1, v8
	v_sub_nc_u32_e32 v11, 0x3f1, v9
	v_cndmask_b32_e64 v2, 0, 1, vcc_lo
	v_cmp_ne_u32_e32 vcc_lo, 0, v4
	v_add_nc_u32_e32 v9, 0xfffffc10, v9
	v_and_or_b32 v12, 0xffe, v6, v2
	v_cndmask_b32_e64 v4, 0, 1, vcc_lo
	v_med3_i32 v2, v10, 0, 13
	v_med3_i32 v10, v11, 0, 13
	v_or_b32_e32 v11, 0x1000, v12
	v_and_or_b32 v4, 0xffe, v7, v4
	v_mad_u64_u32 v[6:7], null, s4, v26, 0
	v_lshrrev_b32_e32 v14, v2, v11
	v_or_b32_e32 v13, 0x1000, v4
	v_lshlrev_b32_e32 v16, v2, v14
	v_lshrrev_b32_e32 v15, v10, v13
	v_mov_b32_e32 v2, v7
	v_cmp_ne_u32_e32 vcc_lo, v16, v11
	v_lshlrev_b32_e32 v7, v10, v15
	v_add_nc_u32_e32 v10, 0xfffffc10, v8
	v_cndmask_b32_e64 v11, 0, 1, vcc_lo
	v_cmp_ne_u32_e32 vcc_lo, v7, v13
	v_mad_u64_u32 v[7:8], null, s5, v26, v[2:3]
	v_lshl_or_b32 v2, v10, 12, v12
	v_or_b32_e32 v8, v14, v11
	v_cndmask_b32_e64 v13, 0, 1, vcc_lo
	v_cmp_gt_i32_e32 vcc_lo, 1, v10
	v_lshl_or_b32 v11, v9, 12, v4
	v_lshrrev_b32_e32 v3, 16, v3
	v_or_b32_e32 v13, v15, v13
	v_cndmask_b32_e32 v2, v2, v8, vcc_lo
	v_cmp_gt_i32_e32 vcc_lo, 1, v9
	v_cndmask_b32_e32 v8, v11, v13, vcc_lo
	v_cmp_ne_u32_e32 vcc_lo, 0, v12
	v_and_b32_e32 v12, 7, v2
	v_lshrrev_b32_e32 v2, 2, v2
	v_and_b32_e32 v13, 7, v8
	v_cndmask_b32_e64 v11, 0, 1, vcc_lo
	v_cmp_ne_u32_e32 vcc_lo, 0, v4
	v_cmp_eq_u32_e64 s0, 3, v12
	v_lshrrev_b32_e32 v8, 2, v8
	v_cmp_lt_i32_e64 s1, 5, v13
	v_cmp_eq_u32_e64 s2, 3, v13
	v_cndmask_b32_e64 v4, 0, 1, vcc_lo
	v_cmp_lt_i32_e32 vcc_lo, 5, v12
	v_lshl_or_b32 v11, v11, 9, 0x7c00
	v_lshl_or_b32 v4, v4, 9, 0x7c00
	s_or_b32 vcc_lo, s0, vcc_lo
	v_add_co_ci_u32_e32 v2, vcc_lo, 0, v2, vcc_lo
	s_or_b32 vcc_lo, s2, s1
	v_add_co_ci_u32_e32 v8, vcc_lo, 0, v8, vcc_lo
	v_cmp_gt_i32_e32 vcc_lo, 31, v10
	v_cndmask_b32_e32 v2, 0x7c00, v2, vcc_lo
	v_cmp_gt_i32_e32 vcc_lo, 31, v9
	v_cndmask_b32_e32 v8, 0x7c00, v8, vcc_lo
	v_cmp_eq_u32_e32 vcc_lo, 0x40f, v10
	v_cndmask_b32_e32 v2, v2, v11, vcc_lo
	v_cmp_eq_u32_e32 vcc_lo, 0x40f, v9
	v_and_or_b32 v2, 0x8000, v3, v2
	v_cndmask_b32_e32 v4, v8, v4, vcc_lo
	v_and_or_b32 v4, 0x8000, v5, v4
	v_and_b32_e32 v5, 0xffff, v2
	v_lshlrev_b64 v[2:3], 2, v[6:7]
	v_lshl_or_b32 v4, v4, 16, v5
	v_add_co_u32 v0, vcc_lo, v0, v2
	v_add_co_ci_u32_e32 v1, vcc_lo, v1, v3, vcc_lo
	global_store_dword v[0:1], v4, off
.LBB0_23:
	s_endpgm
	.section	.rodata,"a",@progbits
	.p2align	6, 0x0
	.amdhsa_kernel bluestein_single_back_len306_dim1_half_op_CI_CI
		.amdhsa_group_segment_fixed_size 8568
		.amdhsa_private_segment_fixed_size 0
		.amdhsa_kernarg_size 104
		.amdhsa_user_sgpr_count 6
		.amdhsa_user_sgpr_private_segment_buffer 1
		.amdhsa_user_sgpr_dispatch_ptr 0
		.amdhsa_user_sgpr_queue_ptr 0
		.amdhsa_user_sgpr_kernarg_segment_ptr 1
		.amdhsa_user_sgpr_dispatch_id 0
		.amdhsa_user_sgpr_flat_scratch_init 0
		.amdhsa_user_sgpr_private_segment_size 0
		.amdhsa_wavefront_size32 1
		.amdhsa_uses_dynamic_stack 0
		.amdhsa_system_sgpr_private_segment_wavefront_offset 0
		.amdhsa_system_sgpr_workgroup_id_x 1
		.amdhsa_system_sgpr_workgroup_id_y 0
		.amdhsa_system_sgpr_workgroup_id_z 0
		.amdhsa_system_sgpr_workgroup_info 0
		.amdhsa_system_vgpr_workitem_id 0
		.amdhsa_next_free_vgpr 208
		.amdhsa_next_free_sgpr 16
		.amdhsa_reserve_vcc 1
		.amdhsa_reserve_flat_scratch 0
		.amdhsa_float_round_mode_32 0
		.amdhsa_float_round_mode_16_64 0
		.amdhsa_float_denorm_mode_32 3
		.amdhsa_float_denorm_mode_16_64 3
		.amdhsa_dx10_clamp 1
		.amdhsa_ieee_mode 1
		.amdhsa_fp16_overflow 0
		.amdhsa_workgroup_processor_mode 1
		.amdhsa_memory_ordered 1
		.amdhsa_forward_progress 0
		.amdhsa_shared_vgpr_count 0
		.amdhsa_exception_fp_ieee_invalid_op 0
		.amdhsa_exception_fp_denorm_src 0
		.amdhsa_exception_fp_ieee_div_zero 0
		.amdhsa_exception_fp_ieee_overflow 0
		.amdhsa_exception_fp_ieee_underflow 0
		.amdhsa_exception_fp_ieee_inexact 0
		.amdhsa_exception_int_div_zero 0
	.end_amdhsa_kernel
	.text
.Lfunc_end0:
	.size	bluestein_single_back_len306_dim1_half_op_CI_CI, .Lfunc_end0-bluestein_single_back_len306_dim1_half_op_CI_CI
                                        ; -- End function
	.section	.AMDGPU.csdata,"",@progbits
; Kernel info:
; codeLenInByte = 26828
; NumSgprs: 18
; NumVgprs: 208
; ScratchSize: 0
; MemoryBound: 0
; FloatMode: 240
; IeeeMode: 1
; LDSByteSize: 8568 bytes/workgroup (compile time only)
; SGPRBlocks: 2
; VGPRBlocks: 25
; NumSGPRsForWavesPerEU: 18
; NumVGPRsForWavesPerEU: 208
; Occupancy: 4
; WaveLimiterHint : 1
; COMPUTE_PGM_RSRC2:SCRATCH_EN: 0
; COMPUTE_PGM_RSRC2:USER_SGPR: 6
; COMPUTE_PGM_RSRC2:TRAP_HANDLER: 0
; COMPUTE_PGM_RSRC2:TGID_X_EN: 1
; COMPUTE_PGM_RSRC2:TGID_Y_EN: 0
; COMPUTE_PGM_RSRC2:TGID_Z_EN: 0
; COMPUTE_PGM_RSRC2:TIDIG_COMP_CNT: 0
	.text
	.p2alignl 6, 3214868480
	.fill 48, 4, 3214868480
	.type	__hip_cuid_2239868ba2e060fe,@object ; @__hip_cuid_2239868ba2e060fe
	.section	.bss,"aw",@nobits
	.globl	__hip_cuid_2239868ba2e060fe
__hip_cuid_2239868ba2e060fe:
	.byte	0                               ; 0x0
	.size	__hip_cuid_2239868ba2e060fe, 1

	.ident	"AMD clang version 19.0.0git (https://github.com/RadeonOpenCompute/llvm-project roc-6.4.0 25133 c7fe45cf4b819c5991fe208aaa96edf142730f1d)"
	.section	".note.GNU-stack","",@progbits
	.addrsig
	.addrsig_sym __hip_cuid_2239868ba2e060fe
	.amdgpu_metadata
---
amdhsa.kernels:
  - .args:
      - .actual_access:  read_only
        .address_space:  global
        .offset:         0
        .size:           8
        .value_kind:     global_buffer
      - .actual_access:  read_only
        .address_space:  global
        .offset:         8
        .size:           8
        .value_kind:     global_buffer
      - .actual_access:  read_only
        .address_space:  global
        .offset:         16
        .size:           8
        .value_kind:     global_buffer
      - .actual_access:  read_only
        .address_space:  global
        .offset:         24
        .size:           8
        .value_kind:     global_buffer
      - .actual_access:  read_only
        .address_space:  global
        .offset:         32
        .size:           8
        .value_kind:     global_buffer
      - .offset:         40
        .size:           8
        .value_kind:     by_value
      - .address_space:  global
        .offset:         48
        .size:           8
        .value_kind:     global_buffer
      - .address_space:  global
        .offset:         56
        .size:           8
        .value_kind:     global_buffer
      - .address_space:  global
        .offset:         64
        .size:           8
        .value_kind:     global_buffer
      - .address_space:  global
        .offset:         72
        .size:           8
        .value_kind:     global_buffer
      - .offset:         80
        .size:           4
        .value_kind:     by_value
      - .address_space:  global
        .offset:         88
        .size:           8
        .value_kind:     global_buffer
      - .address_space:  global
        .offset:         96
        .size:           8
        .value_kind:     global_buffer
    .group_segment_fixed_size: 8568
    .kernarg_segment_align: 8
    .kernarg_segment_size: 104
    .language:       OpenCL C
    .language_version:
      - 2
      - 0
    .max_flat_workgroup_size: 238
    .name:           bluestein_single_back_len306_dim1_half_op_CI_CI
    .private_segment_fixed_size: 0
    .sgpr_count:     18
    .sgpr_spill_count: 0
    .symbol:         bluestein_single_back_len306_dim1_half_op_CI_CI.kd
    .uniform_work_group_size: 1
    .uses_dynamic_stack: false
    .vgpr_count:     208
    .vgpr_spill_count: 0
    .wavefront_size: 32
    .workgroup_processor_mode: 1
amdhsa.target:   amdgcn-amd-amdhsa--gfx1030
amdhsa.version:
  - 1
  - 2
...

	.end_amdgpu_metadata
